;; amdgpu-corpus repo=ROCm/rocFFT kind=compiled arch=gfx950 opt=O3
	.text
	.amdgcn_target "amdgcn-amd-amdhsa--gfx950"
	.amdhsa_code_object_version 6
	.protected	fft_rtc_fwd_len1638_factors_13_2_3_7_3_wgs_182_tpt_182_halfLds_dp_ip_CI_unitstride_sbrr_C2R_dirReg ; -- Begin function fft_rtc_fwd_len1638_factors_13_2_3_7_3_wgs_182_tpt_182_halfLds_dp_ip_CI_unitstride_sbrr_C2R_dirReg
	.globl	fft_rtc_fwd_len1638_factors_13_2_3_7_3_wgs_182_tpt_182_halfLds_dp_ip_CI_unitstride_sbrr_C2R_dirReg
	.p2align	8
	.type	fft_rtc_fwd_len1638_factors_13_2_3_7_3_wgs_182_tpt_182_halfLds_dp_ip_CI_unitstride_sbrr_C2R_dirReg,@function
fft_rtc_fwd_len1638_factors_13_2_3_7_3_wgs_182_tpt_182_halfLds_dp_ip_CI_unitstride_sbrr_C2R_dirReg: ; @fft_rtc_fwd_len1638_factors_13_2_3_7_3_wgs_182_tpt_182_halfLds_dp_ip_CI_unitstride_sbrr_C2R_dirReg
; %bb.0:
	s_load_dwordx2 s[8:9], s[0:1], 0x50
	s_load_dwordx4 s[4:7], s[0:1], 0x0
	s_load_dwordx2 s[10:11], s[0:1], 0x18
	v_mul_u32_u24_e32 v1, 0x169, v0
	v_add_u32_sdwa v6, s2, v1 dst_sel:DWORD dst_unused:UNUSED_PAD src0_sel:DWORD src1_sel:WORD_1
	v_mov_b32_e32 v4, 0
	s_waitcnt lgkmcnt(0)
	v_cmp_lt_u64_e64 s[2:3], s[6:7], 2
	v_mov_b32_e32 v7, v4
	s_and_b64 vcc, exec, s[2:3]
	v_mov_b64_e32 v[2:3], 0
	s_cbranch_vccnz .LBB0_8
; %bb.1:
	s_load_dwordx2 s[2:3], s[0:1], 0x10
	s_add_u32 s12, s10, 8
	s_addc_u32 s13, s11, 0
	s_mov_b64 s[14:15], 1
	v_mov_b64_e32 v[2:3], 0
	s_waitcnt lgkmcnt(0)
	s_add_u32 s16, s2, 8
	s_addc_u32 s17, s3, 0
.LBB0_2:                                ; =>This Inner Loop Header: Depth=1
	s_load_dwordx2 s[18:19], s[16:17], 0x0
                                        ; implicit-def: $vgpr8_vgpr9
	s_waitcnt lgkmcnt(0)
	v_or_b32_e32 v5, s19, v7
	v_cmp_ne_u64_e32 vcc, 0, v[4:5]
	s_and_saveexec_b64 s[2:3], vcc
	s_xor_b64 s[20:21], exec, s[2:3]
	s_cbranch_execz .LBB0_4
; %bb.3:                                ;   in Loop: Header=BB0_2 Depth=1
	v_cvt_f32_u32_e32 v1, s18
	v_cvt_f32_u32_e32 v5, s19
	s_sub_u32 s2, 0, s18
	s_subb_u32 s3, 0, s19
	v_fmac_f32_e32 v1, 0x4f800000, v5
	v_rcp_f32_e32 v1, v1
	s_nop 0
	v_mul_f32_e32 v1, 0x5f7ffffc, v1
	v_mul_f32_e32 v5, 0x2f800000, v1
	v_trunc_f32_e32 v5, v5
	v_fmac_f32_e32 v1, 0xcf800000, v5
	v_cvt_u32_f32_e32 v5, v5
	v_cvt_u32_f32_e32 v1, v1
	v_mul_lo_u32 v8, s2, v5
	v_mul_hi_u32 v10, s2, v1
	v_mul_lo_u32 v9, s3, v1
	v_add_u32_e32 v10, v10, v8
	v_mul_lo_u32 v12, s2, v1
	v_add_u32_e32 v13, v10, v9
	v_mul_hi_u32 v8, v1, v12
	v_mul_hi_u32 v11, v1, v13
	v_mul_lo_u32 v10, v1, v13
	v_mov_b32_e32 v9, v4
	v_lshl_add_u64 v[8:9], v[8:9], 0, v[10:11]
	v_mul_hi_u32 v11, v5, v12
	v_mul_lo_u32 v12, v5, v12
	v_add_co_u32_e32 v8, vcc, v8, v12
	v_mul_hi_u32 v10, v5, v13
	s_nop 0
	v_addc_co_u32_e32 v8, vcc, v9, v11, vcc
	v_mov_b32_e32 v9, v4
	s_nop 0
	v_addc_co_u32_e32 v11, vcc, 0, v10, vcc
	v_mul_lo_u32 v10, v5, v13
	v_lshl_add_u64 v[8:9], v[8:9], 0, v[10:11]
	v_add_co_u32_e32 v1, vcc, v1, v8
	v_mul_lo_u32 v10, s2, v1
	s_nop 0
	v_addc_co_u32_e32 v5, vcc, v5, v9, vcc
	v_mul_lo_u32 v8, s2, v5
	v_mul_hi_u32 v9, s2, v1
	v_add_u32_e32 v8, v9, v8
	v_mul_lo_u32 v9, s3, v1
	v_add_u32_e32 v12, v8, v9
	v_mul_hi_u32 v14, v5, v10
	v_mul_lo_u32 v15, v5, v10
	v_mul_hi_u32 v9, v1, v12
	v_mul_lo_u32 v8, v1, v12
	v_mul_hi_u32 v10, v1, v10
	v_mov_b32_e32 v11, v4
	v_lshl_add_u64 v[8:9], v[10:11], 0, v[8:9]
	v_add_co_u32_e32 v8, vcc, v8, v15
	v_mul_hi_u32 v13, v5, v12
	s_nop 0
	v_addc_co_u32_e32 v8, vcc, v9, v14, vcc
	v_mul_lo_u32 v10, v5, v12
	s_nop 0
	v_addc_co_u32_e32 v11, vcc, 0, v13, vcc
	v_mov_b32_e32 v9, v4
	v_lshl_add_u64 v[8:9], v[8:9], 0, v[10:11]
	v_add_co_u32_e32 v1, vcc, v1, v8
	v_mul_hi_u32 v10, v6, v1
	s_nop 0
	v_addc_co_u32_e32 v5, vcc, v5, v9, vcc
	v_mad_u64_u32 v[8:9], s[2:3], v6, v5, 0
	v_mov_b32_e32 v11, v4
	v_lshl_add_u64 v[8:9], v[10:11], 0, v[8:9]
	v_mad_u64_u32 v[12:13], s[2:3], v7, v1, 0
	v_add_co_u32_e32 v1, vcc, v8, v12
	v_mad_u64_u32 v[10:11], s[2:3], v7, v5, 0
	s_nop 0
	v_addc_co_u32_e32 v8, vcc, v9, v13, vcc
	v_mov_b32_e32 v9, v4
	s_nop 0
	v_addc_co_u32_e32 v11, vcc, 0, v11, vcc
	v_lshl_add_u64 v[8:9], v[8:9], 0, v[10:11]
	v_mul_lo_u32 v1, s19, v8
	v_mul_lo_u32 v5, s18, v9
	v_mad_u64_u32 v[10:11], s[2:3], s18, v8, 0
	v_add3_u32 v1, v11, v5, v1
	v_sub_u32_e32 v5, v7, v1
	v_mov_b32_e32 v11, s19
	v_sub_co_u32_e32 v14, vcc, v6, v10
	v_lshl_add_u64 v[12:13], v[8:9], 0, 1
	s_nop 0
	v_subb_co_u32_e64 v5, s[2:3], v5, v11, vcc
	v_subrev_co_u32_e64 v10, s[2:3], s18, v14
	v_subb_co_u32_e32 v1, vcc, v7, v1, vcc
	s_nop 0
	v_subbrev_co_u32_e64 v5, s[2:3], 0, v5, s[2:3]
	v_cmp_le_u32_e64 s[2:3], s19, v5
	v_cmp_le_u32_e32 vcc, s19, v1
	s_nop 0
	v_cndmask_b32_e64 v11, 0, -1, s[2:3]
	v_cmp_le_u32_e64 s[2:3], s18, v10
	s_nop 1
	v_cndmask_b32_e64 v10, 0, -1, s[2:3]
	v_cmp_eq_u32_e64 s[2:3], s19, v5
	s_nop 1
	v_cndmask_b32_e64 v5, v11, v10, s[2:3]
	v_lshl_add_u64 v[10:11], v[8:9], 0, 2
	v_cmp_ne_u32_e64 s[2:3], 0, v5
	s_nop 1
	v_cndmask_b32_e64 v5, v13, v11, s[2:3]
	v_cndmask_b32_e64 v11, 0, -1, vcc
	v_cmp_le_u32_e32 vcc, s18, v14
	s_nop 1
	v_cndmask_b32_e64 v13, 0, -1, vcc
	v_cmp_eq_u32_e32 vcc, s19, v1
	s_nop 1
	v_cndmask_b32_e32 v1, v11, v13, vcc
	v_cmp_ne_u32_e32 vcc, 0, v1
	v_cndmask_b32_e64 v1, v12, v10, s[2:3]
	s_nop 0
	v_cndmask_b32_e32 v9, v9, v5, vcc
	v_cndmask_b32_e32 v8, v8, v1, vcc
.LBB0_4:                                ;   in Loop: Header=BB0_2 Depth=1
	s_andn2_saveexec_b64 s[2:3], s[20:21]
	s_cbranch_execz .LBB0_6
; %bb.5:                                ;   in Loop: Header=BB0_2 Depth=1
	v_cvt_f32_u32_e32 v1, s18
	s_sub_i32 s20, 0, s18
	v_rcp_iflag_f32_e32 v1, v1
	s_nop 0
	v_mul_f32_e32 v1, 0x4f7ffffe, v1
	v_cvt_u32_f32_e32 v1, v1
	v_mul_lo_u32 v5, s20, v1
	v_mul_hi_u32 v5, v1, v5
	v_add_u32_e32 v1, v1, v5
	v_mul_hi_u32 v1, v6, v1
	v_mul_lo_u32 v5, v1, s18
	v_sub_u32_e32 v5, v6, v5
	v_add_u32_e32 v8, 1, v1
	v_subrev_u32_e32 v9, s18, v5
	v_cmp_le_u32_e32 vcc, s18, v5
	s_nop 1
	v_cndmask_b32_e32 v5, v5, v9, vcc
	v_cndmask_b32_e32 v1, v1, v8, vcc
	v_add_u32_e32 v8, 1, v1
	v_cmp_le_u32_e32 vcc, s18, v5
	v_mov_b32_e32 v9, v4
	s_nop 0
	v_cndmask_b32_e32 v8, v1, v8, vcc
.LBB0_6:                                ;   in Loop: Header=BB0_2 Depth=1
	s_or_b64 exec, exec, s[2:3]
	v_mad_u64_u32 v[10:11], s[2:3], v8, s18, 0
	s_load_dwordx2 s[2:3], s[12:13], 0x0
	v_mul_lo_u32 v1, v9, s18
	v_mul_lo_u32 v5, v8, s19
	v_add3_u32 v1, v11, v5, v1
	v_sub_co_u32_e32 v5, vcc, v6, v10
	s_add_u32 s14, s14, 1
	s_nop 0
	v_subb_co_u32_e32 v1, vcc, v7, v1, vcc
	s_addc_u32 s15, s15, 0
	s_waitcnt lgkmcnt(0)
	v_mul_lo_u32 v1, s2, v1
	v_mul_lo_u32 v6, s3, v5
	v_mad_u64_u32 v[2:3], s[2:3], s2, v5, v[2:3]
	s_add_u32 s12, s12, 8
	v_add3_u32 v3, v6, v3, v1
	s_addc_u32 s13, s13, 0
	v_mov_b64_e32 v[6:7], s[6:7]
	s_add_u32 s16, s16, 8
	v_cmp_ge_u64_e32 vcc, s[14:15], v[6:7]
	s_addc_u32 s17, s17, 0
	s_cbranch_vccnz .LBB0_9
; %bb.7:                                ;   in Loop: Header=BB0_2 Depth=1
	v_mov_b64_e32 v[6:7], v[8:9]
	s_branch .LBB0_2
.LBB0_8:
	v_mov_b64_e32 v[8:9], v[6:7]
.LBB0_9:
	s_lshl_b64 s[2:3], s[6:7], 3
	s_add_u32 s2, s10, s2
	s_addc_u32 s3, s11, s3
	s_load_dwordx2 s[6:7], s[2:3], 0x0
	s_load_dwordx2 s[10:11], s[0:1], 0x20
	s_mov_b32 s2, 0x1681682
	s_waitcnt lgkmcnt(0)
	v_mul_lo_u32 v1, s6, v9
	v_mul_lo_u32 v4, s7, v8
	v_mad_u64_u32 v[2:3], s[0:1], s6, v8, v[2:3]
	v_add3_u32 v3, v4, v3, v1
	v_mul_hi_u32 v1, v0, s2
	v_mul_u32_u24_e32 v1, 0xb6, v1
	v_cmp_gt_u64_e64 s[0:1], s[10:11], v[8:9]
	v_sub_u32_e32 v82, v0, v1
	v_lshl_add_u64 v[80:81], v[2:3], 4, s[8:9]
	s_and_saveexec_b64 s[2:3], s[0:1]
	s_cbranch_execz .LBB0_13
; %bb.10:
	v_mov_b32_e32 v83, 0
	v_lshl_add_u64 v[32:33], v[82:83], 4, v[80:81]
	v_add_co_u32_e32 v16, vcc, 0x1000, v32
	global_load_dwordx4 v[0:3], v[32:33], off
	global_load_dwordx4 v[4:7], v[32:33], off offset:2912
	v_addc_co_u32_e32 v17, vcc, 0, v33, vcc
	v_add_co_u32_e32 v24, vcc, 0x2000, v32
	s_movk_i32 s6, 0xb5
	s_nop 0
	v_addc_co_u32_e32 v25, vcc, 0, v33, vcc
	v_add_co_u32_e32 v26, vcc, 0x3000, v32
	global_load_dwordx4 v[8:11], v[16:17], off offset:1728
	global_load_dwordx4 v[12:15], v[24:25], off offset:544
	v_addc_co_u32_e32 v27, vcc, 0, v33, vcc
	v_add_co_u32_e32 v34, vcc, 0x4000, v32
	global_load_dwordx4 v[16:19], v[24:25], off offset:3456
	global_load_dwordx4 v[20:23], v[26:27], off offset:2272
	v_addc_co_u32_e32 v35, vcc, 0, v33, vcc
	global_load_dwordx4 v[24:27], v[34:35], off offset:1088
	global_load_dwordx4 v[28:31], v[34:35], off offset:4000
	v_add_co_u32_e32 v32, vcc, 0x5000, v32
	v_lshl_add_u32 v36, v82, 4, 0
	s_nop 0
	v_addc_co_u32_e32 v33, vcc, 0, v33, vcc
	global_load_dwordx4 v[32:35], v[32:33], off offset:2816
	v_cmp_eq_u32_e32 vcc, s6, v82
	s_waitcnt vmcnt(8)
	ds_write_b128 v36, v[0:3]
	s_waitcnt vmcnt(7)
	ds_write_b128 v36, v[4:7] offset:2912
	s_waitcnt vmcnt(6)
	ds_write_b128 v36, v[8:11] offset:5824
	;; [unrolled: 2-line block ×8, first 2 shown]
	s_and_saveexec_b64 s[6:7], vcc
	s_cbranch_execz .LBB0_12
; %bb.11:
	v_add_co_u32_e32 v0, vcc, 0x6000, v80
	v_mov_b32_e32 v82, 0xb5
	s_nop 0
	v_addc_co_u32_e32 v1, vcc, 0, v81, vcc
	global_load_dwordx4 v[0:3], v[0:1], off offset:1632
	s_waitcnt vmcnt(0)
	ds_write_b128 v83, v[0:3] offset:26208
.LBB0_12:
	s_or_b64 exec, exec, s[6:7]
.LBB0_13:
	s_or_b64 exec, exec, s[2:3]
	v_lshlrev_b32_e32 v0, 4, v82
	v_add_u32_e32 v248, 0, v0
	s_waitcnt lgkmcnt(0)
	s_barrier
	v_sub_u32_e32 v10, 0, v0
	ds_read_b64 v[6:7], v248
	ds_read_b64 v[8:9], v10 offset:26208
	s_add_u32 s2, s4, 0x6590
	s_addc_u32 s3, s5, 0
	v_cmp_ne_u32_e32 vcc, 0, v82
                                        ; implicit-def: $vgpr4_vgpr5
	s_waitcnt lgkmcnt(0)
	v_add_f64 v[0:1], v[6:7], v[8:9]
	v_add_f64 v[2:3], v[6:7], -v[8:9]
	s_and_saveexec_b64 s[6:7], vcc
	s_xor_b64 s[6:7], exec, s[6:7]
	s_cbranch_execz .LBB0_15
; %bb.14:
	v_mov_b32_e32 v83, 0
	v_lshl_add_u64 v[0:1], v[82:83], 4, s[2:3]
	global_load_dwordx4 v[12:15], v[0:1], off
	ds_read_b64 v[0:1], v10 offset:26216
	ds_read_b64 v[2:3], v248 offset:8
	v_add_f64 v[4:5], v[6:7], v[8:9]
	v_add_f64 v[8:9], v[6:7], -v[8:9]
	s_waitcnt lgkmcnt(0)
	v_add_f64 v[16:17], v[0:1], v[2:3]
	v_add_f64 v[0:1], v[2:3], -v[0:1]
	s_waitcnt vmcnt(0)
	v_fma_f64 v[18:19], v[8:9], v[14:15], v[4:5]
	v_fma_f64 v[4:5], -v[8:9], v[14:15], v[4:5]
	v_fma_f64 v[6:7], v[16:17], v[14:15], -v[0:1]
	v_fma_f64 v[2:3], v[16:17], v[14:15], v[0:1]
	v_fmac_f64_e32 v[4:5], v[16:17], v[12:13]
	v_fmac_f64_e32 v[6:7], v[8:9], v[12:13]
	v_fma_f64 v[0:1], -v[16:17], v[12:13], v[18:19]
	v_fmac_f64_e32 v[2:3], v[8:9], v[12:13]
	ds_write_b128 v10, v[4:7] offset:26208
	v_mov_b64_e32 v[4:5], v[82:83]
.LBB0_15:
	s_andn2_saveexec_b64 s[6:7], s[6:7]
	s_cbranch_execz .LBB0_17
; %bb.16:
	v_mov_b32_e32 v8, 0
	ds_read_b128 v[4:7], v8 offset:13104
	s_waitcnt lgkmcnt(0)
	v_add_f64 v[4:5], v[4:5], v[4:5]
	v_mul_f64 v[6:7], v[6:7], -2.0
	ds_write_b128 v8, v[4:7] offset:13104
	v_mov_b64_e32 v[4:5], 0
.LBB0_17:
	s_or_b64 exec, exec, s[6:7]
	v_lshl_add_u64 v[4:5], v[4:5], 4, s[2:3]
	global_load_dwordx4 v[6:9], v[4:5], off offset:2912
	v_add_u32_e32 v252, 0x16c, v82
	v_mov_b32_e32 v253, 0
	v_lshl_add_u64 v[12:13], v[252:253], 4, s[2:3]
	global_load_dwordx4 v[12:15], v[12:13], off
	v_add_u32_e32 v86, 0x222, v82
	v_mov_b32_e32 v87, v253
	v_lshl_add_u64 v[16:17], v[86:87], 4, s[2:3]
	global_load_dwordx4 v[16:19], v[16:17], off
	ds_write_b128 v248, v[0:3]
	ds_read_b128 v[0:3], v248 offset:2912
	ds_read_b128 v[20:23], v10 offset:23296
	v_lshl_add_u32 v83, v252, 4, 0
	v_lshl_add_u32 v249, v86, 4, 0
	s_movk_i32 s2, 0x5b
	v_cmp_gt_u32_e32 vcc, s2, v82
	s_waitcnt lgkmcnt(0)
	v_add_f64 v[24:25], v[0:1], v[20:21]
	v_add_f64 v[26:27], v[22:23], v[2:3]
	v_add_f64 v[28:29], v[0:1], -v[20:21]
	v_add_f64 v[0:1], v[2:3], -v[22:23]
	s_waitcnt vmcnt(2)
	v_fma_f64 v[30:31], v[28:29], v[8:9], v[24:25]
	v_fma_f64 v[2:3], v[26:27], v[8:9], v[0:1]
	v_fma_f64 v[20:21], -v[28:29], v[8:9], v[24:25]
	v_fma_f64 v[22:23], v[26:27], v[8:9], -v[0:1]
	v_fma_f64 v[0:1], -v[26:27], v[6:7], v[30:31]
	v_fmac_f64_e32 v[2:3], v[28:29], v[6:7]
	v_fmac_f64_e32 v[20:21], v[26:27], v[6:7]
	;; [unrolled: 1-line block ×3, first 2 shown]
	ds_write_b128 v248, v[0:3] offset:2912
	ds_write_b128 v10, v[20:23] offset:23296
	ds_read_b128 v[0:3], v83
	ds_read_b128 v[6:9], v10 offset:20384
	s_waitcnt lgkmcnt(0)
	v_add_f64 v[20:21], v[0:1], v[6:7]
	v_add_f64 v[22:23], v[8:9], v[2:3]
	v_add_f64 v[24:25], v[0:1], -v[6:7]
	v_add_f64 v[0:1], v[2:3], -v[8:9]
	s_waitcnt vmcnt(1)
	v_fma_f64 v[26:27], v[24:25], v[14:15], v[20:21]
	v_fma_f64 v[2:3], v[22:23], v[14:15], v[0:1]
	v_fma_f64 v[6:7], -v[24:25], v[14:15], v[20:21]
	v_fma_f64 v[8:9], v[22:23], v[14:15], -v[0:1]
	v_fma_f64 v[0:1], -v[22:23], v[12:13], v[26:27]
	v_fmac_f64_e32 v[2:3], v[24:25], v[12:13]
	v_fmac_f64_e32 v[6:7], v[22:23], v[12:13]
	;; [unrolled: 1-line block ×3, first 2 shown]
	ds_write_b128 v83, v[0:3]
	ds_write_b128 v10, v[6:9] offset:20384
	ds_read_b128 v[0:3], v249
	ds_read_b128 v[6:9], v10 offset:17472
	s_waitcnt lgkmcnt(0)
	v_add_f64 v[12:13], v[0:1], v[6:7]
	v_add_f64 v[14:15], v[8:9], v[2:3]
	v_add_f64 v[20:21], v[0:1], -v[6:7]
	v_add_f64 v[0:1], v[2:3], -v[8:9]
	s_waitcnt vmcnt(0)
	v_fma_f64 v[22:23], v[20:21], v[18:19], v[12:13]
	v_fma_f64 v[2:3], v[14:15], v[18:19], v[0:1]
	v_fma_f64 v[6:7], -v[20:21], v[18:19], v[12:13]
	v_fma_f64 v[8:9], v[14:15], v[18:19], -v[0:1]
	v_fma_f64 v[0:1], -v[14:15], v[16:17], v[22:23]
	v_fmac_f64_e32 v[2:3], v[20:21], v[16:17]
	v_fmac_f64_e32 v[6:7], v[14:15], v[16:17]
	;; [unrolled: 1-line block ×3, first 2 shown]
	ds_write_b128 v249, v[0:3]
	ds_write_b128 v10, v[6:9] offset:17472
	s_and_saveexec_b64 s[6:7], vcc
	s_cbranch_execz .LBB0_19
; %bb.18:
	s_movk_i32 s2, 0x2000
	v_add_co_u32_e64 v0, s[2:3], s2, v4
	s_nop 1
	v_addc_co_u32_e64 v1, s[2:3], 0, v5, s[2:3]
	global_load_dwordx4 v[0:3], v[0:1], off offset:3456
	ds_read_b128 v[4:7], v248 offset:11648
	ds_read_b128 v[12:15], v10 offset:14560
	s_waitcnt lgkmcnt(0)
	v_add_f64 v[8:9], v[4:5], v[12:13]
	v_add_f64 v[16:17], v[14:15], v[6:7]
	v_add_f64 v[12:13], v[4:5], -v[12:13]
	v_add_f64 v[14:15], v[6:7], -v[14:15]
	s_waitcnt vmcnt(0)
	v_fma_f64 v[18:19], v[12:13], v[2:3], v[8:9]
	v_fma_f64 v[4:5], v[16:17], v[2:3], v[14:15]
	v_fma_f64 v[6:7], -v[12:13], v[2:3], v[8:9]
	v_fma_f64 v[8:9], v[16:17], v[2:3], -v[14:15]
	v_fma_f64 v[2:3], -v[16:17], v[0:1], v[18:19]
	v_fmac_f64_e32 v[4:5], v[12:13], v[0:1]
	v_fmac_f64_e32 v[6:7], v[16:17], v[0:1]
	;; [unrolled: 1-line block ×3, first 2 shown]
	ds_write_b128 v248, v[2:5] offset:11648
	ds_write_b128 v10, v[6:9] offset:14560
.LBB0_19:
	s_or_b64 exec, exec, s[6:7]
	s_waitcnt lgkmcnt(0)
	s_barrier
	s_barrier
	ds_read_b128 v[12:15], v248 offset:24192
	ds_read_b128 v[20:23], v248 offset:2016
	ds_read_b128 v[24:27], v248
	ds_read_b128 v[28:31], v248 offset:4032
	ds_read_b128 v[32:35], v248 offset:6048
	;; [unrolled: 1-line block ×4, first 2 shown]
	s_mov_b32 s24, 0x4267c47c
	s_waitcnt lgkmcnt(5)
	v_add_f64 v[72:73], v[22:23], -v[14:15]
	s_mov_b32 s6, 0xe00740e9
	s_mov_b32 s25, 0xbfddbe06
	;; [unrolled: 1-line block ×3, first 2 shown]
	ds_read_b128 v[48:51], v248 offset:18144
	ds_read_b128 v[52:55], v248 offset:8064
	v_add_f64 v[76:77], v[20:21], v[12:13]
	v_add_f64 v[110:111], v[20:21], -v[12:13]
	s_mov_b32 s7, 0x3fec55a7
	v_mul_f64 v[84:85], v[72:73], s[24:25]
	s_mov_b32 s8, 0x1ea71119
	s_mov_b32 s21, 0xbfea55e2
	s_waitcnt lgkmcnt(3)
	v_add_f64 v[74:75], v[30:31], -v[42:43]
	v_add_f64 v[78:79], v[22:23], v[14:15]
	v_mul_f64 v[88:89], v[110:111], s[24:25]
	v_fma_f64 v[0:1], s[6:7], v[76:77], v[84:85]
	s_mov_b32 s9, 0x3fe22d96
	v_add_f64 v[114:115], v[28:29], v[40:41]
	v_add_f64 v[162:163], v[28:29], -v[40:41]
	v_mul_f64 v[90:91], v[74:75], s[20:21]
	s_mov_b32 s22, 0x66966769
	ds_read_b128 v[56:59], v248 offset:10080
	ds_read_b128 v[60:63], v248 offset:16128
	v_add_f64 v[0:1], v[24:25], v[0:1]
	v_fma_f64 v[2:3], v[78:79], s[6:7], -v[88:89]
	v_add_f64 v[116:117], v[30:31], v[42:43]
	v_mul_f64 v[92:93], v[162:163], s[20:21]
	v_fma_f64 v[4:5], s[8:9], v[114:115], v[90:91]
	s_mov_b32 s10, 0xebaa3ed8
	s_mov_b32 s23, 0xbfefc445
	s_waitcnt lgkmcnt(4)
	v_add_f64 v[192:193], v[34:35], -v[46:47]
	v_add_f64 v[2:3], v[26:27], v[2:3]
	v_add_f64 v[0:1], v[4:5], v[0:1]
	v_fma_f64 v[4:5], v[116:117], s[8:9], -v[92:93]
	s_mov_b32 s11, 0x3fbedb7d
	v_add_f64 v[120:121], v[32:33], v[44:45]
	v_mul_f64 v[94:95], v[192:193], s[22:23]
	v_add_f64 v[184:185], v[32:33], -v[44:45]
	s_mov_b32 s26, 0x2ef20147
	ds_read_b128 v[64:67], v248 offset:12096
	ds_read_b128 v[68:71], v248 offset:14112
	v_add_f64 v[2:3], v[4:5], v[2:3]
	v_fma_f64 v[4:5], s[10:11], v[120:121], v[94:95]
	v_add_f64 v[124:125], v[34:35], v[46:47]
	v_mul_f64 v[98:99], v[184:185], s[22:23]
	s_mov_b32 s14, 0xb2365da1
	s_mov_b32 s27, 0xbfedeba7
	s_waitcnt lgkmcnt(4)
	v_add_f64 v[208:209], v[54:55], -v[50:51]
	v_add_f64 v[0:1], v[4:5], v[0:1]
	v_fma_f64 v[4:5], v[124:125], s[10:11], -v[98:99]
	s_mov_b32 s15, 0xbfd6b1d8
	v_add_f64 v[136:137], v[52:53], v[48:49]
	v_mul_f64 v[100:101], v[208:209], s[26:27]
	v_add_f64 v[202:203], v[52:53], -v[48:49]
	s_mov_b32 s28, 0x24c2f84
	v_add_f64 v[2:3], v[4:5], v[2:3]
	v_fma_f64 v[4:5], s[14:15], v[136:137], v[100:101]
	v_add_f64 v[140:141], v[54:55], v[50:51]
	v_mul_f64 v[102:103], v[202:203], s[26:27]
	s_mov_b32 s12, 0xd0032e0c
	s_mov_b32 s29, 0xbfe5384d
	s_waitcnt lgkmcnt(2)
	v_add_f64 v[218:219], v[58:59], -v[62:63]
	v_add_f64 v[0:1], v[4:5], v[0:1]
	v_fma_f64 v[4:5], v[140:141], s[14:15], -v[102:103]
	s_mov_b32 s13, 0xbfe7f3cc
	v_add_f64 v[146:147], v[56:57], v[60:61]
	v_mul_f64 v[104:105], v[218:219], s[28:29]
	v_add_f64 v[214:215], v[56:57], -v[60:61]
	s_mov_b32 s30, 0x4bc48dbf
	v_add_f64 v[2:3], v[4:5], v[2:3]
	v_fma_f64 v[4:5], s[12:13], v[146:147], v[104:105]
	v_add_f64 v[150:151], v[58:59], v[62:63]
	v_mul_f64 v[106:107], v[214:215], s[28:29]
	s_mov_b32 s18, 0x93053d00
	s_mov_b32 s31, 0xbfcea1e5
	s_waitcnt lgkmcnt(0)
	v_add_f64 v[224:225], v[66:67], -v[70:71]
	v_add_f64 v[0:1], v[4:5], v[0:1]
	v_fma_f64 v[4:5], v[150:151], s[12:13], -v[106:107]
	s_mov_b32 s19, 0xbfef11f4
	v_add_f64 v[154:155], v[64:65], v[68:69]
	v_mul_f64 v[108:109], v[224:225], s[30:31]
	v_add_f64 v[222:223], v[64:65], -v[68:69]
	v_add_f64 v[2:3], v[4:5], v[2:3]
	v_fma_f64 v[4:5], s[18:19], v[154:155], v[108:109]
	v_add_f64 v[156:157], v[66:67], v[70:71]
	v_mul_f64 v[112:113], v[222:223], s[30:31]
	v_add_f64 v[0:1], v[4:5], v[0:1]
	v_fma_f64 v[4:5], v[156:157], s[18:19], -v[112:113]
	v_mul_f64 v[118:119], v[72:73], s[20:21]
	v_add_f64 v[2:3], v[4:5], v[2:3]
	v_fma_f64 v[4:5], s[8:9], v[76:77], v[118:119]
	v_mul_f64 v[122:123], v[74:75], s[26:27]
	v_add_f64 v[4:5], v[24:25], v[4:5]
	v_fma_f64 v[6:7], s[14:15], v[114:115], v[122:123]
	v_mul_f64 v[128:129], v[110:111], s[20:21]
	v_add_f64 v[4:5], v[6:7], v[4:5]
	v_fma_f64 v[6:7], v[78:79], s[8:9], -v[128:129]
	v_mul_f64 v[132:133], v[162:163], s[26:27]
	v_add_f64 v[6:7], v[26:27], v[6:7]
	v_fma_f64 v[8:9], v[116:117], s[14:15], -v[132:133]
	v_mul_f64 v[126:127], v[192:193], s[30:31]
	v_add_f64 v[6:7], v[8:9], v[6:7]
	v_fma_f64 v[8:9], s[18:19], v[120:121], v[126:127]
	v_mul_f64 v[134:135], v[184:185], s[30:31]
	s_mov_b32 s39, 0x3fe5384d
	s_mov_b32 s38, s28
	v_add_f64 v[4:5], v[8:9], v[4:5]
	v_fma_f64 v[8:9], v[124:125], s[18:19], -v[134:135]
	v_mul_f64 v[130:131], v[208:209], s[38:39]
	v_add_f64 v[6:7], v[8:9], v[6:7]
	v_fma_f64 v[8:9], s[12:13], v[136:137], v[130:131]
	v_mul_f64 v[142:143], v[202:203], s[38:39]
	s_mov_b32 s37, 0x3fefc445
	s_mov_b32 s36, s22
	;; [unrolled: 8-line block ×3, first 2 shown]
	v_add_f64 v[4:5], v[8:9], v[4:5]
	v_fma_f64 v[8:9], v[150:151], s[10:11], -v[148:149]
	v_mul_f64 v[144:145], v[224:225], s[34:35]
	v_add_f64 v[6:7], v[8:9], v[6:7]
	v_fma_f64 v[8:9], s[6:7], v[154:155], v[144:145]
	v_mul_f64 v[152:153], v[222:223], s[34:35]
	v_add_f64 v[4:5], v[8:9], v[4:5]
	v_fma_f64 v[8:9], v[156:157], s[6:7], -v[152:153]
	v_mul_f64 v[158:159], v[72:73], s[22:23]
	v_add_f64 v[6:7], v[8:9], v[6:7]
	v_fma_f64 v[8:9], s[10:11], v[76:77], v[158:159]
	v_mul_f64 v[160:161], v[74:75], s[30:31]
	v_add_f64 v[8:9], v[24:25], v[8:9]
	v_fma_f64 v[10:11], s[18:19], v[114:115], v[160:161]
	v_mul_f64 v[166:167], v[110:111], s[22:23]
	v_add_f64 v[8:9], v[10:11], v[8:9]
	v_fma_f64 v[10:11], v[78:79], s[10:11], -v[166:167]
	v_mul_f64 v[170:171], v[162:163], s[30:31]
	s_mov_b32 s41, 0x3fedeba7
	s_mov_b32 s40, s26
	v_add_f64 v[10:11], v[26:27], v[10:11]
	v_fma_f64 v[16:17], v[116:117], s[18:19], -v[170:171]
	v_mul_f64 v[164:165], v[192:193], s[40:41]
	v_add_f64 v[10:11], v[16:17], v[10:11]
	v_fma_f64 v[16:17], s[14:15], v[120:121], v[164:165]
	v_mul_f64 v[174:175], v[184:185], s[40:41]
	v_add_f64 v[8:9], v[16:17], v[8:9]
	v_fma_f64 v[16:17], v[124:125], s[14:15], -v[174:175]
	v_mul_f64 v[168:169], v[208:209], s[34:35]
	v_add_f64 v[10:11], v[16:17], v[10:11]
	v_fma_f64 v[16:17], s[6:7], v[136:137], v[168:169]
	v_mul_f64 v[178:179], v[202:203], s[34:35]
	;; [unrolled: 6-line block ×5, first 2 shown]
	v_add_f64 v[16:17], v[24:25], v[16:17]
	v_fma_f64 v[18:19], s[12:13], v[114:115], v[188:189]
	v_mul_f64 v[198:199], v[110:111], s[26:27]
	v_add_f64 v[16:17], v[18:19], v[16:17]
	v_fma_f64 v[18:19], v[78:79], s[14:15], -v[198:199]
	v_mul_f64 v[204:205], v[162:163], s[38:39]
	v_add_f64 v[18:19], v[26:27], v[18:19]
	v_fma_f64 v[36:37], v[116:117], s[12:13], -v[204:205]
	v_mul_f64 v[190:191], v[192:193], s[34:35]
	v_add_f64 v[18:19], v[36:37], v[18:19]
	v_fma_f64 v[36:37], s[6:7], v[120:121], v[190:191]
	v_mul_f64 v[206:207], v[184:185], s[34:35]
	v_add_f64 v[16:17], v[36:37], v[16:17]
	v_fma_f64 v[36:37], v[124:125], s[6:7], -v[206:207]
	v_mul_f64 v[194:195], v[208:209], s[22:23]
	v_add_f64 v[18:19], v[36:37], v[18:19]
	v_fma_f64 v[36:37], s[10:11], v[136:137], v[194:195]
	v_mul_f64 v[210:211], v[202:203], s[22:23]
	s_mov_b32 s45, 0x3fcea1e5
	s_mov_b32 s44, s30
	v_add_f64 v[16:17], v[36:37], v[16:17]
	v_fma_f64 v[36:37], v[140:141], s[10:11], -v[210:211]
	v_mul_f64 v[196:197], v[218:219], s[44:45]
	v_add_f64 v[18:19], v[36:37], v[18:19]
	v_fma_f64 v[36:37], s[18:19], v[146:147], v[196:197]
	v_mul_f64 v[212:213], v[214:215], s[44:45]
	s_mov_b32 s43, 0x3fea55e2
	s_mov_b32 s42, s20
	v_add_f64 v[16:17], v[36:37], v[16:17]
	v_fma_f64 v[36:37], v[150:151], s[18:19], -v[212:213]
	v_mul_f64 v[200:201], v[224:225], s[42:43]
	v_add_f64 v[18:19], v[36:37], v[18:19]
	v_fma_f64 v[36:37], s[8:9], v[154:155], v[200:201]
	v_mul_f64 v[216:217], v[222:223], s[42:43]
	v_add_f64 v[36:37], v[36:37], v[16:17]
	v_fma_f64 v[16:17], v[156:157], s[8:9], -v[216:217]
	v_mul_f64 v[220:221], v[72:73], s[28:29]
	v_add_f64 v[38:39], v[16:17], v[18:19]
	v_fma_f64 v[16:17], s[12:13], v[76:77], v[220:221]
	v_mul_f64 v[226:227], v[74:75], s[36:37]
	v_add_f64 v[16:17], v[24:25], v[16:17]
	v_fma_f64 v[18:19], s[10:11], v[114:115], v[226:227]
	v_mul_f64 v[236:237], v[110:111], s[28:29]
	v_add_f64 v[16:17], v[18:19], v[16:17]
	v_fma_f64 v[18:19], v[78:79], s[12:13], -v[236:237]
	v_mul_f64 v[238:239], v[162:163], s[36:37]
	v_add_f64 v[18:19], v[26:27], v[18:19]
	v_fma_f64 v[228:229], v[116:117], s[10:11], -v[238:239]
	v_add_f64 v[18:19], v[228:229], v[18:19]
	v_mul_f64 v[228:229], v[192:193], s[20:21]
	v_fma_f64 v[230:231], s[8:9], v[120:121], v[228:229]
	v_mul_f64 v[240:241], v[184:185], s[20:21]
	v_add_f64 v[16:17], v[230:231], v[16:17]
	v_fma_f64 v[230:231], v[124:125], s[8:9], -v[240:241]
	v_add_f64 v[18:19], v[230:231], v[18:19]
	v_mul_f64 v[230:231], v[208:209], s[44:45]
	v_fma_f64 v[232:233], s[18:19], v[136:137], v[230:231]
	;; [unrolled: 6-line block ×4, first 2 shown]
	v_add_f64 v[16:17], v[246:247], v[16:17]
	v_mul_f64 v[246:247], v[222:223], s[26:27]
	v_fma_f64 v[250:251], v[156:157], s[14:15], -v[246:247]
	s_movk_i32 s2, 0x7e
	v_add_f64 v[18:19], v[250:251], v[18:19]
	v_cmp_gt_u32_e64 s[2:3], s2, v82
	s_barrier
	s_and_saveexec_b64 s[16:17], s[2:3]
	s_cbranch_execz .LBB0_21
; %bb.20:
	v_accvgpr_write_b32 a4, v88
	v_accvgpr_write_b32 a5, v89
	v_mul_f64 v[88:89], v[78:79], s[18:19]
	v_accvgpr_write_b32 a2, v90
	v_accvgpr_write_b32 a0, v252
	v_mul_f64 v[252:253], v[116:117], s[6:7]
	v_accvgpr_write_b32 a3, v91
	v_fma_f64 v[90:91], s[44:45], v[110:111], v[88:89]
	v_mul_f64 v[250:251], v[124:125], s[12:13]
	v_fma_f64 v[254:255], s[24:25], v[162:163], v[252:253]
	v_add_f64 v[90:91], v[26:27], v[90:91]
	v_add_f64 v[90:91], v[254:255], v[90:91]
	v_fma_f64 v[254:255], s[38:39], v[184:185], v[250:251]
	v_add_f64 v[90:91], v[254:255], v[90:91]
	v_mul_f64 v[254:255], v[140:141], s[8:9]
	v_accvgpr_write_b32 a8, v92
	v_accvgpr_write_b32 a9, v93
	v_fma_f64 v[92:93], s[20:21], v[202:203], v[254:255]
	v_add_f64 v[90:91], v[92:93], v[90:91]
	v_mul_f64 v[92:93], v[150:151], s[14:15]
	v_accvgpr_write_b32 a6, v94
	v_accvgpr_write_b32 a10, v84
	;; [unrolled: 1-line block ×3, first 2 shown]
	v_fma_f64 v[94:95], s[40:41], v[214:215], v[92:93]
	v_accvgpr_write_b32 a11, v85
	v_mul_f64 v[84:85], v[72:73], s[30:31]
	v_add_f64 v[90:91], v[94:95], v[90:91]
	v_mul_f64 v[94:95], v[74:75], s[34:35]
	v_fma_f64 v[72:73], s[18:19], v[76:77], v[84:85]
	v_add_f64 v[72:73], v[24:25], v[72:73]
	v_fma_f64 v[74:75], s[6:7], v[114:115], v[94:95]
	v_mul_f64 v[192:193], v[192:193], s[28:29]
	v_add_f64 v[72:73], v[74:75], v[72:73]
	v_fma_f64 v[74:75], s[12:13], v[120:121], v[192:193]
	v_mul_f64 v[208:209], v[208:209], s[42:43]
	;; [unrolled: 3-line block ×3, first 2 shown]
	v_fmac_f64_e32 v[88:89], s[30:31], v[110:111]
	v_add_f64 v[72:73], v[74:75], v[72:73]
	v_fma_f64 v[74:75], s[14:15], v[146:147], v[218:219]
	v_mul_f64 v[96:97], v[156:157], s[10:11]
	v_fmac_f64_e32 v[252:253], s[34:35], v[162:163]
	v_add_f64 v[88:89], v[26:27], v[88:89]
	v_add_f64 v[72:73], v[74:75], v[72:73]
	v_fma_f64 v[74:75], s[22:23], v[222:223], v[96:97]
	v_fmac_f64_e32 v[250:251], s[28:29], v[184:185]
	v_add_f64 v[88:89], v[252:253], v[88:89]
	v_add_f64 v[74:75], v[74:75], v[90:91]
	v_mul_f64 v[90:91], v[224:225], s[36:37]
	v_fmac_f64_e32 v[254:255], s[42:43], v[202:203]
	v_add_f64 v[88:89], v[250:251], v[88:89]
	v_fma_f64 v[84:85], v[76:77], s[18:19], -v[84:85]
	v_fma_f64 v[224:225], s[10:11], v[154:155], v[90:91]
	v_fmac_f64_e32 v[92:93], s[26:27], v[214:215]
	v_add_f64 v[88:89], v[254:255], v[88:89]
	v_fma_f64 v[94:95], v[114:115], s[6:7], -v[94:95]
	v_add_f64 v[84:85], v[24:25], v[84:85]
	v_add_f64 v[72:73], v[224:225], v[72:73]
	v_mul_f64 v[184:185], v[76:77], s[6:7]
	v_mul_f64 v[110:111], v[76:77], s[8:9]
	;; [unrolled: 1-line block ×3, first 2 shown]
	v_add_f64 v[88:89], v[92:93], v[88:89]
	v_mul_f64 v[92:93], v[76:77], s[14:15]
	v_add_f64 v[84:85], v[94:95], v[84:85]
	v_mul_f64 v[224:225], v[76:77], s[12:13]
	v_fma_f64 v[76:77], v[120:121], s[12:13], -v[192:193]
	v_fmac_f64_e32 v[96:97], s[36:37], v[222:223]
	v_mul_f64 v[162:163], v[78:79], s[6:7]
	v_mul_f64 v[202:203], v[78:79], s[8:9]
	v_mul_f64 v[222:223], v[78:79], s[10:11]
	v_mul_f64 v[94:95], v[78:79], s[14:15]
	v_mul_f64 v[250:251], v[78:79], s[12:13]
	v_add_f64 v[76:77], v[76:77], v[84:85]
	v_fma_f64 v[78:79], v[136:137], s[8:9], -v[208:209]
	v_add_f64 v[76:77], v[78:79], v[76:77]
	v_fma_f64 v[78:79], v[146:147], s[14:15], -v[218:219]
	v_mul_f64 v[218:219], v[140:141], s[18:19]
	v_add_f64 v[218:219], v[242:243], v[218:219]
	v_mul_f64 v[242:243], v[124:125], s[8:9]
	v_add_f64 v[240:241], v[240:241], v[242:243]
	;; [unrolled: 2-line block ×3, first 2 shown]
	v_add_f64 v[238:239], v[238:239], v[242:243]
	v_add_f64 v[236:237], v[26:27], v[236:237]
	;; [unrolled: 1-line block ×4, first 2 shown]
	v_fma_f64 v[88:89], v[154:155], s[10:11], -v[90:91]
	v_mul_f64 v[90:91], v[156:157], s[14:15]
	v_mul_f64 v[96:97], v[150:151], s[6:7]
	v_add_f64 v[236:237], v[238:239], v[236:237]
	v_mul_f64 v[84:85], v[116:117], s[8:9]
	v_add_f64 v[76:77], v[88:89], v[76:77]
	;; [unrolled: 2-line block ×3, first 2 shown]
	v_add_f64 v[96:97], v[244:245], v[96:97]
	v_mul_f64 v[244:245], v[116:117], s[18:19]
	v_mul_f64 v[246:247], v[116:117], s[12:13]
	v_add_f64 v[116:117], v[240:241], v[236:237]
	v_add_f64 v[116:117], v[218:219], v[116:117]
	;; [unrolled: 1-line block ×3, first 2 shown]
	v_mul_f64 v[116:117], v[154:155], s[14:15]
	v_add_f64 v[234:235], v[116:117], -v[234:235]
	v_mul_f64 v[116:117], v[146:147], s[6:7]
	v_mul_f64 v[192:193], v[114:115], s[8:9]
	;; [unrolled: 1-line block ×6, first 2 shown]
	v_add_f64 v[116:117], v[116:117], -v[232:233]
	v_mul_f64 v[232:233], v[136:137], s[18:19]
	v_add_f64 v[220:221], v[224:225], -v[220:221]
	v_add_f64 v[230:231], v[232:233], -v[230:231]
	v_mul_f64 v[232:233], v[120:121], s[8:9]
	v_add_f64 v[114:115], v[114:115], -v[226:227]
	v_add_f64 v[220:221], v[24:25], v[220:221]
	v_add_f64 v[228:229], v[232:233], -v[228:229]
	v_add_f64 v[114:115], v[114:115], v[220:221]
	v_add_f64 v[114:115], v[228:229], v[114:115]
	;; [unrolled: 1-line block ×5, first 2 shown]
	v_mul_f64 v[96:97], v[156:157], s[8:9]
	v_add_f64 v[94:95], v[198:199], v[94:95]
	v_mul_f64 v[218:219], v[124:125], s[10:11]
	v_mul_f64 v[226:227], v[124:125], s[18:19]
	;; [unrolled: 1-line block ×4, first 2 shown]
	v_add_f64 v[96:97], v[216:217], v[96:97]
	v_mul_f64 v[216:217], v[150:151], s[18:19]
	v_add_f64 v[204:205], v[204:205], v[246:247]
	v_add_f64 v[94:95], v[26:27], v[94:95]
	;; [unrolled: 1-line block ×3, first 2 shown]
	v_mul_f64 v[216:217], v[140:141], s[10:11]
	v_add_f64 v[124:125], v[206:207], v[124:125]
	v_add_f64 v[94:95], v[204:205], v[94:95]
	v_add_f64 v[210:211], v[210:211], v[216:217]
	v_add_f64 v[94:95], v[124:125], v[94:95]
	v_add_f64 v[94:95], v[210:211], v[94:95]
	v_mul_f64 v[228:229], v[136:137], s[14:15]
	v_mul_f64 v[240:241], v[136:137], s[12:13]
	;; [unrolled: 1-line block ×4, first 2 shown]
	v_add_f64 v[94:95], v[212:213], v[94:95]
	v_mul_f64 v[212:213], v[154:155], s[8:9]
	v_add_f64 v[92:93], v[92:93], -v[186:187]
	v_mul_f64 v[236:237], v[120:121], s[10:11]
	v_mul_f64 v[232:233], v[120:121], s[18:19]
	;; [unrolled: 1-line block ×4, first 2 shown]
	v_add_f64 v[200:201], v[212:213], -v[200:201]
	v_mul_f64 v[212:213], v[156:157], s[18:19]
	v_add_f64 v[136:137], v[136:137], -v[194:195]
	v_mul_f64 v[194:195], v[156:157], s[6:7]
	v_mul_f64 v[250:251], v[156:157], s[12:13]
	v_add_f64 v[156:157], v[96:97], v[94:95]
	v_add_f64 v[96:97], v[238:239], -v[188:189]
	v_add_f64 v[92:93], v[24:25], v[92:93]
	v_mul_f64 v[230:231], v[140:141], s[14:15]
	v_mul_f64 v[90:91], v[140:141], s[12:13]
	;; [unrolled: 1-line block ×3, first 2 shown]
	v_add_f64 v[94:95], v[120:121], -v[190:191]
	v_add_f64 v[92:93], v[96:97], v[92:93]
	v_add_f64 v[92:93], v[94:95], v[92:93]
	;; [unrolled: 1-line block ×7, first 2 shown]
	v_mul_f64 v[206:207], v[146:147], s[12:13]
	v_mul_f64 v[198:199], v[146:147], s[10:11]
	;; [unrolled: 1-line block ×4, first 2 shown]
	v_add_f64 v[120:121], v[174:175], v[220:221]
	v_add_f64 v[136:137], v[136:137], v[140:141]
	;; [unrolled: 1-line block ×3, first 2 shown]
	v_mul_f64 v[234:235], v[150:151], s[12:13]
	v_mul_f64 v[204:205], v[150:151], s[10:11]
	;; [unrolled: 1-line block ×3, first 2 shown]
	v_add_f64 v[146:147], v[146:147], -v[196:197]
	v_add_f64 v[120:121], v[120:121], v[136:137]
	v_add_f64 v[92:93], v[146:147], v[92:93]
	;; [unrolled: 1-line block ×4, first 2 shown]
	v_mul_f64 v[210:211], v[154:155], s[18:19]
	v_mul_f64 v[196:197], v[154:155], s[6:7]
	;; [unrolled: 1-line block ×3, first 2 shown]
	v_add_f64 v[154:155], v[200:201], v[92:93]
	v_add_f64 v[92:93], v[182:183], v[250:251]
	v_add_f64 v[94:95], v[94:95], v[96:97]
	v_add_f64 v[136:137], v[214:215], -v[158:159]
	v_add_f64 v[166:167], v[92:93], v[94:95]
	v_add_f64 v[94:95], v[124:125], -v[172:173]
	v_add_f64 v[124:125], v[242:243], -v[160:161]
	v_add_f64 v[136:137], v[24:25], v[136:137]
	v_add_f64 v[120:121], v[224:225], -v[164:165]
	v_add_f64 v[124:125], v[124:125], v[136:137]
	v_add_f64 v[96:97], v[216:217], -v[168:169]
	v_add_f64 v[120:121], v[120:121], v[124:125]
	v_add_f64 v[96:97], v[96:97], v[120:121]
	v_add_f64 v[120:121], v[128:129], v[202:203]
	;; [unrolled: 1-line block ×7, first 2 shown]
	v_add_f64 v[92:93], v[246:247], -v[176:177]
	v_add_f64 v[90:91], v[142:143], v[90:91]
	v_add_f64 v[88:89], v[96:97], v[88:89]
	v_add_f64 v[110:111], v[110:111], -v[118:119]
	v_add_f64 v[164:165], v[92:93], v[94:95]
	v_add_f64 v[94:95], v[148:149], v[204:205]
	v_add_f64 v[88:89], v[90:91], v[88:89]
	v_add_f64 v[96:97], v[208:209], -v[122:123]
	v_add_f64 v[110:111], v[24:25], v[110:111]
	v_add_f64 v[88:89], v[94:95], v[88:89]
	v_add_f64 v[94:95], v[232:233], -v[126:127]
	v_add_f64 v[96:97], v[96:97], v[110:111]
	v_add_f64 v[94:95], v[94:95], v[96:97]
	v_accvgpr_read_b32 v97, a9
	v_accvgpr_read_b32 v96, a8
	v_add_f64 v[22:23], v[26:27], v[22:23]
	v_add_f64 v[20:21], v[24:25], v[20:21]
	v_add_f64 v[84:85], v[96:97], v[84:85]
	v_accvgpr_read_b32 v97, a5
	v_add_f64 v[22:23], v[22:23], v[30:31]
	v_add_f64 v[20:21], v[20:21], v[28:29]
	v_add_f64 v[92:93], v[152:153], v[194:195]
	;; [unrolled: 4-line block ×3, first 2 shown]
	v_add_f64 v[92:93], v[240:241], -v[130:131]
	v_add_f64 v[96:97], v[96:97], v[162:163]
	v_add_f64 v[22:23], v[22:23], v[54:55]
	;; [unrolled: 1-line block ×6, first 2 shown]
	v_accvgpr_read_b32 v99, a11
	v_add_f64 v[22:23], v[22:23], v[58:59]
	v_add_f64 v[20:21], v[20:21], v[56:57]
	;; [unrolled: 1-line block ×3, first 2 shown]
	v_accvgpr_read_b32 v97, a3
	v_accvgpr_read_b32 v98, a10
	v_add_f64 v[22:23], v[22:23], v[66:67]
	v_add_f64 v[20:21], v[20:21], v[64:65]
	v_add_f64 v[90:91], v[198:199], -v[138:139]
	v_add_f64 v[84:85], v[94:95], v[84:85]
	v_accvgpr_read_b32 v95, a7
	v_accvgpr_read_b32 v96, a2
	v_add_f64 v[98:99], v[184:185], -v[98:99]
	v_add_f64 v[22:23], v[22:23], v[70:71]
	v_add_f64 v[20:21], v[20:21], v[68:69]
	v_add_f64 v[88:89], v[196:197], -v[144:145]
	v_add_f64 v[90:91], v[90:91], v[92:93]
	v_add_f64 v[92:93], v[102:103], v[230:231]
	v_accvgpr_read_b32 v94, a6
	v_add_f64 v[96:97], v[192:193], -v[96:97]
	v_add_f64 v[98:99], v[24:25], v[98:99]
	v_add_f64 v[22:23], v[22:23], v[62:63]
	;; [unrolled: 1-line block ×6, first 2 shown]
	v_add_f64 v[94:95], v[236:237], -v[94:95]
	v_add_f64 v[96:97], v[96:97], v[98:99]
	v_add_f64 v[22:23], v[22:23], v[50:51]
	;; [unrolled: 1-line block ×5, first 2 shown]
	v_add_f64 v[92:93], v[228:229], -v[100:101]
	v_add_f64 v[94:95], v[94:95], v[96:97]
	v_add_f64 v[22:23], v[22:23], v[46:47]
	;; [unrolled: 1-line block ×4, first 2 shown]
	v_add_f64 v[88:89], v[206:207], -v[104:105]
	v_add_f64 v[92:93], v[92:93], v[94:95]
	v_add_f64 v[22:23], v[22:23], v[42:43]
	;; [unrolled: 1-line block ×3, first 2 shown]
	s_movk_i32 s2, 0xd0
	v_accvgpr_read_b32 v252, a0
	v_add_f64 v[84:85], v[210:211], -v[108:109]
	v_add_f64 v[88:89], v[88:89], v[92:93]
	v_add_f64 v[14:15], v[22:23], v[14:15]
	;; [unrolled: 1-line block ×3, first 2 shown]
	v_mad_u32_u24 v20, v82, s2, 0
	v_add_f64 v[88:89], v[84:85], v[88:89]
	ds_write_b128 v20, v[12:15]
	ds_write_b128 v20, v[88:91] offset:16
	ds_write_b128 v20, v[118:121] offset:32
	;; [unrolled: 1-line block ×12, first 2 shown]
.LBB0_21:
	s_or_b64 exec, exec, s[16:17]
	s_waitcnt lgkmcnt(0)
	s_barrier
	ds_read_b128 v[20:23], v248
	ds_read_b128 v[24:27], v248 offset:2912
	ds_read_b128 v[40:43], v248 offset:13104
	;; [unrolled: 1-line block ×3, first 2 shown]
	ds_read_b128 v[28:31], v83
	ds_read_b128 v[32:35], v249
	ds_read_b128 v[48:51], v248 offset:18928
	ds_read_b128 v[44:47], v248 offset:21840
	s_and_saveexec_b64 s[2:3], vcc
	s_cbranch_execz .LBB0_23
; %bb.22:
	ds_read_b128 v[16:19], v248 offset:11648
	ds_read_b128 v[36:39], v248 offset:24752
.LBB0_23:
	s_or_b64 exec, exec, s[2:3]
	s_movk_i32 s2, 0x4f
	v_mul_lo_u16_sdwa v55, v82, s2 dst_sel:DWORD dst_unused:UNUSED_PAD src0_sel:BYTE_0 src1_sel:DWORD
	v_add_u32_e32 v56, 0xb6, v82
	v_lshrrev_b16_e32 v59, 10, v55
	s_movk_i32 s2, 0x4ec5
	v_mul_lo_u16_e32 v52, 13, v59
	v_mul_u32_u24_sdwa v54, v56, s2 dst_sel:DWORD dst_unused:UNUSED_PAD src0_sel:WORD_0 src1_sel:DWORD
	v_sub_u16_e32 v53, v82, v52
	v_mov_b32_e32 v52, 4
	v_lshrrev_b32_e32 v85, 18, v54
	v_lshlrev_b32_sdwa v84, v52, v53 dst_sel:DWORD dst_unused:UNUSED_PAD src0_sel:DWORD src1_sel:BYTE_0
	v_mul_lo_u16_e32 v53, 13, v85
	v_sub_u16_e32 v53, v56, v53
	v_lshlrev_b32_e32 v87, 4, v53
	v_mul_u32_u24_sdwa v53, v252, s2 dst_sel:DWORD dst_unused:UNUSED_PAD src0_sel:WORD_0 src1_sel:DWORD
	v_lshrrev_b32_e32 v88, 18, v53
	v_mul_lo_u16_e32 v57, 13, v88
	v_sub_u16_e32 v57, v252, v57
	v_lshlrev_b32_e32 v89, 4, v57
	v_mul_u32_u24_sdwa v57, v86, s2 dst_sel:DWORD dst_unused:UNUSED_PAD src0_sel:WORD_0 src1_sel:DWORD
	v_lshrrev_b32_e32 v90, 18, v57
	v_mul_lo_u16_e32 v57, 13, v90
	v_add_u32_e32 v58, 0x2d8, v82
	v_sub_u16_e32 v57, v86, v57
	v_lshlrev_b32_e32 v94, 4, v57
	v_mul_u32_u24_sdwa v57, v58, s2 dst_sel:DWORD dst_unused:UNUSED_PAD src0_sel:WORD_0 src1_sel:DWORD
	v_lshrrev_b32_e32 v57, 18, v57
	v_mul_lo_u16_e32 v76, 13, v57
	v_sub_u16_e32 v58, v58, v76
	v_lshlrev_b32_e32 v58, 4, v58
	global_load_dwordx4 v[60:63], v84, s[4:5]
	global_load_dwordx4 v[64:67], v87, s[4:5]
	;; [unrolled: 1-line block ×5, first 2 shown]
	s_mov_b32 s3, 0x5040100
	s_movk_i32 s2, 0x1a0
	v_perm_b32 v86, v90, v88, s3
	v_mul_u32_u24_e32 v59, 0x1a0, v59
	v_mul_u32_u24_e32 v85, 0x1a0, v85
	v_pk_mul_lo_u16 v95, v86, s2 op_sel_hi:[1,0]
	v_add3_u32 v59, 0, v59, v84
	v_and_b32_e32 v86, 0xffe0, v95
	v_add3_u32 v96, 0, v85, v87
	v_add3_u32 v97, 0, v86, v89
	s_waitcnt lgkmcnt(0)
	s_barrier
	s_waitcnt vmcnt(4)
	v_mul_f64 v[84:85], v[42:43], v[62:63]
	v_mul_f64 v[62:63], v[40:41], v[62:63]
	s_waitcnt vmcnt(3)
	v_mul_f64 v[86:87], v[14:15], v[66:67]
	v_mul_f64 v[66:67], v[12:13], v[66:67]
	;; [unrolled: 3-line block ×3, first 2 shown]
	s_waitcnt vmcnt(0)
	v_mul_f64 v[92:93], v[38:39], v[78:79]
	v_fma_f64 v[40:41], v[40:41], v[60:61], -v[84:85]
	v_mul_f64 v[90:91], v[46:47], v[74:75]
	v_mul_f64 v[74:75], v[44:45], v[74:75]
	v_mul_f64 v[78:79], v[36:37], v[78:79]
	v_fmac_f64_e32 v[62:63], v[42:43], v[60:61]
	v_fma_f64 v[12:13], v[12:13], v[64:65], -v[86:87]
	v_fmac_f64_e32 v[66:67], v[14:15], v[64:65]
	v_fma_f64 v[14:15], v[48:49], v[68:69], -v[88:89]
	;; [unrolled: 2-line block ×3, first 2 shown]
	v_add_f64 v[36:37], v[20:21], -v[40:41]
	v_fma_f64 v[48:49], v[44:45], v[72:73], -v[90:91]
	v_fmac_f64_e32 v[74:75], v[46:47], v[72:73]
	v_fmac_f64_e32 v[78:79], v[38:39], v[76:77]
	v_add_f64 v[38:39], v[22:23], -v[62:63]
	v_add_f64 v[40:41], v[24:25], -v[12:13]
	;; [unrolled: 1-line block ×5, first 2 shown]
	v_fma_f64 v[20:21], v[20:21], 2.0, -v[36:37]
	v_add_f64 v[48:49], v[32:33], -v[48:49]
	v_add_f64 v[50:51], v[34:35], -v[74:75]
	v_fma_f64 v[22:23], v[22:23], 2.0, -v[38:39]
	v_fma_f64 v[24:25], v[24:25], 2.0, -v[40:41]
	;; [unrolled: 1-line block ×5, first 2 shown]
	ds_write_b128 v59, v[36:39] offset:208
	ds_write_b128 v59, v[20:23]
	ds_write_b128 v96, v[24:27]
	ds_write_b128 v96, v[40:43] offset:208
	ds_write_b128 v97, v[28:31]
	ds_write_b128 v97, v[44:47] offset:208
	v_lshrrev_b32_e32 v20, 16, v95
	v_add_f64 v[12:13], v[16:17], -v[60:61]
	v_add_f64 v[14:15], v[18:19], -v[78:79]
	v_fma_f64 v[32:33], v[32:33], 2.0, -v[48:49]
	v_fma_f64 v[34:35], v[34:35], 2.0, -v[50:51]
	v_add3_u32 v20, 0, v20, v94
	ds_write_b128 v20, v[32:35]
	ds_write_b128 v20, v[48:51] offset:208
	s_and_saveexec_b64 s[2:3], vcc
	s_cbranch_execz .LBB0_25
; %bb.24:
	v_mul_lo_u16_e32 v20, 26, v57
	v_lshlrev_b32_e32 v20, 4, v20
	v_fma_f64 v[18:19], v[18:19], 2.0, -v[14:15]
	v_fma_f64 v[16:17], v[16:17], 2.0, -v[12:13]
	v_add3_u32 v20, 0, v58, v20
	ds_write_b128 v20, v[16:19]
	ds_write_b128 v20, v[12:15] offset:208
.LBB0_25:
	s_or_b64 exec, exec, s[2:3]
	v_lshrrev_b16_e32 v57, 11, v55
	v_mul_lo_u16_e32 v16, 26, v57
	v_sub_u16_e32 v98, v82, v16
	v_mov_b32_e32 v16, 5
	v_lshlrev_b32_sdwa v16, v16, v98 dst_sel:DWORD dst_unused:UNUSED_PAD src0_sel:DWORD src1_sel:BYTE_0
	v_lshrrev_b32_e32 v99, 19, v54
	s_waitcnt lgkmcnt(0)
	s_barrier
	global_load_dwordx4 v[20:23], v16, s[4:5] offset:224
	global_load_dwordx4 v[24:27], v16, s[4:5] offset:208
	v_mul_lo_u16_e32 v16, 26, v99
	v_sub_u16_e32 v100, v56, v16
	v_lshlrev_b32_e32 v16, 5, v100
	v_lshrrev_b32_e32 v53, 19, v53
	global_load_dwordx4 v[28:31], v16, s[4:5] offset:224
	global_load_dwordx4 v[32:35], v16, s[4:5] offset:208
	v_mul_lo_u16_e32 v16, 26, v53
	v_sub_u16_e32 v101, v252, v16
	v_lshlrev_b32_e32 v16, 5, v101
	global_load_dwordx4 v[36:39], v16, s[4:5] offset:208
	global_load_dwordx4 v[40:43], v16, s[4:5] offset:224
	ds_read_b128 v[44:47], v249
	ds_read_b128 v[48:51], v248
	ds_read_b128 v[58:61], v248 offset:2912
	ds_read_b128 v[62:65], v248 offset:17472
	;; [unrolled: 1-line block ×5, first 2 shown]
	ds_read_b128 v[16:19], v83
	ds_read_b128 v[86:89], v248 offset:23296
	s_mov_b32 s2, 0xe8584caa
	s_mov_b32 s3, 0x3febb67a
	;; [unrolled: 1-line block ×4, first 2 shown]
	s_waitcnt lgkmcnt(0)
	s_barrier
	v_cmp_gt_u32_e32 vcc, 52, v82
	s_waitcnt vmcnt(5)
	v_mul_f64 v[78:79], v[64:65], v[22:23]
	s_waitcnt vmcnt(4)
	v_mul_f64 v[54:55], v[46:47], v[26:27]
	v_mul_f64 v[26:27], v[44:45], v[26:27]
	;; [unrolled: 1-line block ×3, first 2 shown]
	v_fmac_f64_e32 v[26:27], v[46:47], v[24:25]
	s_waitcnt vmcnt(3)
	v_mul_f64 v[90:91], v[68:69], v[30:31]
	s_waitcnt vmcnt(2)
	v_mul_f64 v[84:85], v[72:73], v[34:35]
	v_mul_f64 v[34:35], v[70:71], v[34:35]
	;; [unrolled: 1-line block ×3, first 2 shown]
	s_waitcnt vmcnt(1)
	v_mul_f64 v[92:93], v[76:77], v[38:39]
	v_mul_f64 v[94:95], v[74:75], v[38:39]
	s_waitcnt vmcnt(0)
	v_mul_f64 v[38:39], v[88:89], v[42:43]
	v_mul_f64 v[96:97], v[86:87], v[42:43]
	v_fma_f64 v[42:43], v[44:45], v[24:25], -v[54:55]
	v_fma_f64 v[24:25], v[62:63], v[20:21], -v[78:79]
	v_fmac_f64_e32 v[22:23], v[64:65], v[20:21]
	v_fmac_f64_e32 v[34:35], v[72:73], v[32:33]
	;; [unrolled: 1-line block ×3, first 2 shown]
	v_fma_f64 v[20:21], v[70:71], v[32:33], -v[84:85]
	v_fma_f64 v[32:33], v[66:67], v[28:29], -v[90:91]
	;; [unrolled: 1-line block ×3, first 2 shown]
	v_fmac_f64_e32 v[94:95], v[76:77], v[36:37]
	v_add_f64 v[36:37], v[42:43], v[24:25]
	v_add_f64 v[54:55], v[26:27], v[22:23]
	v_add_f64 v[66:67], v[34:35], -v[30:31]
	v_add_f64 v[68:69], v[60:61], v[34:35]
	v_add_f64 v[34:35], v[34:35], v[30:31]
	v_fma_f64 v[46:47], v[86:87], v[40:41], -v[38:39]
	v_fmac_f64_e32 v[96:97], v[88:89], v[40:41]
	v_add_f64 v[28:29], v[48:49], v[42:43]
	v_add_f64 v[38:39], v[26:27], -v[22:23]
	v_add_f64 v[40:41], v[50:51], v[26:27]
	v_add_f64 v[42:43], v[42:43], -v[24:25]
	v_add_f64 v[62:63], v[58:59], v[20:21]
	v_add_f64 v[64:65], v[20:21], v[32:33]
	v_add_f64 v[20:21], v[20:21], -v[32:33]
	v_fmac_f64_e32 v[48:49], -0.5, v[36:37]
	v_fmac_f64_e32 v[50:51], -0.5, v[54:55]
	;; [unrolled: 1-line block ×3, first 2 shown]
	v_fma_f64 v[36:37], s[2:3], v[38:39], v[48:49]
	v_fmac_f64_e32 v[48:49], s[6:7], v[38:39]
	v_fma_f64 v[38:39], s[6:7], v[42:43], v[50:51]
	v_fmac_f64_e32 v[50:51], s[2:3], v[42:43]
	;; [unrolled: 2-line block ×3, first 2 shown]
	v_add_f64 v[20:21], v[44:45], v[46:47]
	v_add_f64 v[70:71], v[16:17], v[44:45]
	;; [unrolled: 1-line block ×3, first 2 shown]
	v_fmac_f64_e32 v[16:17], -0.5, v[20:21]
	v_add_f64 v[22:23], v[94:95], -v[96:97]
	v_fma_f64 v[20:21], s[2:3], v[22:23], v[16:17]
	v_fmac_f64_e32 v[16:17], s[6:7], v[22:23]
	v_add_f64 v[22:23], v[18:19], v[94:95]
	v_add_f64 v[34:35], v[22:23], v[96:97]
	;; [unrolled: 1-line block ×3, first 2 shown]
	v_fmac_f64_e32 v[18:19], -0.5, v[22:23]
	v_add_f64 v[44:45], v[44:45], -v[46:47]
	v_fma_f64 v[22:23], s[6:7], v[44:45], v[18:19]
	v_fmac_f64_e32 v[18:19], s[2:3], v[44:45]
	v_mul_u32_u24_e32 v44, 0x4e0, v57
	v_lshlrev_b32_sdwa v45, v52, v98 dst_sel:DWORD dst_unused:UNUSED_PAD src0_sel:DWORD src1_sel:BYTE_0
	v_add_f64 v[24:25], v[28:29], v[24:25]
	v_add3_u32 v44, 0, v44, v45
	ds_write_b128 v44, v[24:27]
	ds_write_b128 v44, v[36:39] offset:416
	ds_write_b128 v44, v[48:51] offset:832
	v_mul_u32_u24_e32 v24, 0x4e0, v99
	v_lshlrev_b32_e32 v25, 4, v100
	v_add_f64 v[28:29], v[62:63], v[32:33]
	v_fmac_f64_e32 v[58:59], -0.5, v[64:65]
	v_add_f64 v[30:31], v[68:69], v[30:31]
	v_add3_u32 v24, 0, v24, v25
	v_fma_f64 v[40:41], s[2:3], v[66:67], v[58:59]
	v_fmac_f64_e32 v[58:59], s[6:7], v[66:67]
	ds_write_b128 v24, v[28:31]
	ds_write_b128 v24, v[40:43] offset:416
	ds_write_b128 v24, v[58:61] offset:832
	v_mul_u32_u24_e32 v24, 0x4e0, v53
	v_lshlrev_b32_e32 v25, 4, v101
	v_add_f64 v[32:33], v[70:71], v[46:47]
	v_add3_u32 v24, 0, v24, v25
	ds_write_b128 v24, v[32:35]
	ds_write_b128 v24, v[20:23] offset:416
	ds_write_b128 v24, v[16:19] offset:832
	s_waitcnt lgkmcnt(0)
	s_barrier
	ds_read_b128 v[28:31], v248
	ds_read_b128 v[52:55], v248 offset:3744
	ds_read_b128 v[48:51], v248 offset:7488
	;; [unrolled: 1-line block ×6, first 2 shown]
                                        ; implicit-def: $vgpr26_vgpr27
	s_and_saveexec_b64 s[2:3], vcc
	s_cbranch_execz .LBB0_27
; %bb.26:
	ds_read_b128 v[20:23], v248 offset:2912
	ds_read_b128 v[16:19], v248 offset:6656
	ds_read_b128 v[12:15], v248 offset:10400
	ds_read_b128 v[8:11], v248 offset:14144
	ds_read_b128 v[4:7], v248 offset:17888
	ds_read_b128 v[0:3], v248 offset:21632
	ds_read_b128 v[24:27], v248 offset:25376
.LBB0_27:
	s_or_b64 exec, exec, s[2:3]
	v_lshrrev_b16_e32 v57, 1, v82
	v_and_b32_e32 v57, 0x7f, v57
	v_mul_lo_u16_e32 v57, 0xd3, v57
	v_lshrrev_b16_e32 v57, 13, v57
	v_mul_lo_u16_e32 v58, 0x4e, v57
	v_sub_u16_e32 v98, v82, v58
	v_mov_b32_e32 v58, 6
	v_mul_u32_u24_sdwa v58, v98, v58 dst_sel:DWORD dst_unused:UNUSED_PAD src0_sel:BYTE_0 src1_sel:DWORD
	v_lshlrev_b32_e32 v78, 4, v58
	global_load_dwordx4 v[58:61], v78, s[4:5] offset:1040
	global_load_dwordx4 v[62:65], v78, s[4:5] offset:1056
	;; [unrolled: 1-line block ×6, first 2 shown]
	s_mov_b32 s6, 0x37e14327
	s_mov_b32 s8, 0x36b3c0b5
	;; [unrolled: 1-line block ×20, first 2 shown]
	v_mul_u32_u24_e32 v57, 0x2220, v57
	s_waitcnt lgkmcnt(0)
	s_barrier
	s_waitcnt vmcnt(5)
	v_mul_f64 v[78:79], v[54:55], v[60:61]
	v_mul_f64 v[60:61], v[52:53], v[60:61]
	s_waitcnt vmcnt(4)
	v_mul_f64 v[84:85], v[50:51], v[64:65]
	v_mul_f64 v[64:65], v[48:49], v[64:65]
	s_waitcnt vmcnt(1)
	v_mul_f64 v[94:95], v[38:39], v[76:77]
	v_mul_f64 v[76:77], v[36:37], v[76:77]
	s_waitcnt vmcnt(0)
	v_mul_f64 v[96:97], v[34:35], v[88:89]
	v_mul_f64 v[88:89], v[32:33], v[88:89]
	v_mul_f64 v[90:91], v[46:47], v[68:69]
	v_mul_f64 v[68:69], v[44:45], v[68:69]
	;; [unrolled: 1-line block ×4, first 2 shown]
	v_fma_f64 v[52:53], v[52:53], v[58:59], -v[78:79]
	v_fmac_f64_e32 v[60:61], v[54:55], v[58:59]
	v_fma_f64 v[48:49], v[48:49], v[62:63], -v[84:85]
	v_fmac_f64_e32 v[64:65], v[50:51], v[62:63]
	;; [unrolled: 2-line block ×6, first 2 shown]
	v_add_f64 v[34:35], v[52:53], v[32:33]
	v_add_f64 v[38:39], v[60:61], v[88:89]
	;; [unrolled: 1-line block ×4, first 2 shown]
	v_add_f64 v[32:33], v[52:53], -v[32:33]
	v_add_f64 v[42:43], v[60:61], -v[88:89]
	v_add_f64 v[52:53], v[44:45], v[40:41]
	v_add_f64 v[54:55], v[68:69], v[72:73]
	;; [unrolled: 1-line block ×4, first 2 shown]
	v_add_f64 v[36:37], v[48:49], -v[36:37]
	v_add_f64 v[48:49], v[64:65], -v[76:77]
	;; [unrolled: 1-line block ×9, first 2 shown]
	v_add_f64 v[52:53], v[52:53], v[58:59]
	v_add_f64 v[54:55], v[54:55], v[60:61]
	v_add_f64 v[44:45], v[72:73], -v[68:69]
	v_add_f64 v[66:67], v[40:41], v[36:37]
	v_add_f64 v[70:71], v[40:41], -v[36:37]
	v_add_f64 v[36:37], v[36:37], -v[32:33]
	v_add_f64 v[28:29], v[28:29], v[52:53]
	v_add_f64 v[30:31], v[30:31], v[54:55]
	;; [unrolled: 1-line block ×3, first 2 shown]
	v_add_f64 v[72:73], v[44:45], -v[48:49]
	v_add_f64 v[40:41], v[32:33], -v[40:41]
	v_add_f64 v[48:49], v[48:49], -v[42:43]
	v_add_f64 v[32:33], v[66:67], v[32:33]
	v_mul_f64 v[34:35], v[34:35], s[6:7]
	v_mul_f64 v[38:39], v[38:39], s[6:7]
	;; [unrolled: 1-line block ×6, first 2 shown]
	v_mov_b64_e32 v[74:75], v[28:29]
	v_mov_b64_e32 v[76:77], v[30:31]
	v_add_f64 v[44:45], v[42:43], -v[44:45]
	v_add_f64 v[42:43], v[68:69], v[42:43]
	v_mul_f64 v[68:69], v[72:73], s[12:13]
	v_mul_f64 v[72:73], v[48:49], s[2:3]
	v_fmac_f64_e32 v[74:75], s[10:11], v[52:53]
	v_fmac_f64_e32 v[76:77], s[10:11], v[54:55]
	v_fma_f64 v[52:53], v[62:63], s[14:15], -v[58:59]
	v_fma_f64 v[54:55], v[64:65], s[14:15], -v[60:61]
	;; [unrolled: 1-line block ×3, first 2 shown]
	v_fmac_f64_e32 v[34:35], s[8:9], v[46:47]
	v_fma_f64 v[46:47], v[64:65], s[18:19], -v[38:39]
	v_fmac_f64_e32 v[38:39], s[8:9], v[50:51]
	v_fma_f64 v[50:51], v[36:37], s[2:3], -v[66:67]
	v_fma_f64 v[60:61], v[40:41], s[20:21], -v[70:71]
	;; [unrolled: 1-line block ×3, first 2 shown]
	v_fmac_f64_e32 v[68:69], s[22:23], v[44:45]
	v_fma_f64 v[62:63], v[44:45], s[20:21], -v[72:73]
	v_add_f64 v[44:45], v[52:53], v[74:75]
	v_add_f64 v[52:53], v[54:55], v[76:77]
	;; [unrolled: 1-line block ×4, first 2 shown]
	v_fmac_f64_e32 v[50:51], s[16:17], v[32:33]
	v_fmac_f64_e32 v[60:61], s[16:17], v[32:33]
	v_add_f64 v[70:71], v[38:39], v[76:77]
	v_fmac_f64_e32 v[68:69], s[16:17], v[42:43]
	v_fmac_f64_e32 v[48:49], s[16:17], v[42:43]
	;; [unrolled: 1-line block ×3, first 2 shown]
	v_add_f64 v[38:39], v[58:59], -v[60:61]
	v_add_f64 v[42:43], v[50:51], v[52:53]
	v_add_f64 v[46:47], v[52:53], -v[50:51]
	v_add_f64 v[50:51], v[60:61], v[58:59]
	v_mov_b32_e32 v58, 4
	v_fmac_f64_e32 v[66:67], s[22:23], v[40:41]
	v_lshlrev_b32_sdwa v58, v58, v98 dst_sel:DWORD dst_unused:UNUSED_PAD src0_sel:DWORD src1_sel:BYTE_0
	v_add_f64 v[64:65], v[34:35], v[74:75]
	v_fmac_f64_e32 v[66:67], s[16:17], v[32:33]
	v_add3_u32 v57, 0, v57, v58
	v_add_f64 v[32:33], v[68:69], v[64:65]
	v_add_f64 v[34:35], v[70:71], -v[66:67]
	v_add_f64 v[36:37], v[62:63], v[54:55]
	v_add_f64 v[40:41], v[44:45], -v[48:49]
	;; [unrolled: 2-line block ×3, first 2 shown]
	v_add_f64 v[52:53], v[64:65], -v[68:69]
	v_add_f64 v[54:55], v[66:67], v[70:71]
	ds_write_b128 v57, v[28:31]
	ds_write_b128 v57, v[32:35] offset:1248
	ds_write_b128 v57, v[36:39] offset:2496
	;; [unrolled: 1-line block ×6, first 2 shown]
	s_and_saveexec_b64 s[24:25], vcc
	s_cbranch_execz .LBB0_29
; %bb.28:
	v_lshrrev_b16_e32 v28, 1, v56
	v_mul_u32_u24_e32 v28, 0x6907, v28
	v_lshrrev_b32_e32 v28, 20, v28
	v_mul_lo_u16_e32 v28, 0x4e, v28
	v_sub_u16_e32 v57, v56, v28
	v_mul_u32_u24_e32 v28, 6, v57
	v_lshlrev_b32_e32 v52, 4, v28
	global_load_dwordx4 v[28:31], v52, s[4:5] offset:1088
	global_load_dwordx4 v[32:35], v52, s[4:5] offset:1072
	;; [unrolled: 1-line block ×6, first 2 shown]
	s_waitcnt vmcnt(5)
	v_mul_f64 v[52:53], v[6:7], v[30:31]
	s_waitcnt vmcnt(4)
	v_mul_f64 v[54:55], v[10:11], v[34:35]
	;; [unrolled: 2-line block ×6, first 2 shown]
	v_mul_f64 v[34:35], v[8:9], v[34:35]
	v_mul_f64 v[30:31], v[4:5], v[30:31]
	;; [unrolled: 1-line block ×6, first 2 shown]
	v_fmac_f64_e32 v[34:35], v[10:11], v[32:33]
	v_fmac_f64_e32 v[30:31], v[6:7], v[28:29]
	;; [unrolled: 1-line block ×6, first 2 shown]
	v_fma_f64 v[4:5], v[4:5], v[28:29], -v[52:53]
	v_fma_f64 v[8:9], v[8:9], v[32:33], -v[54:55]
	;; [unrolled: 1-line block ×6, first 2 shown]
	v_add_f64 v[14:15], v[34:35], v[30:31]
	v_add_f64 v[18:19], v[38:39], v[42:43]
	v_add_f64 v[26:27], v[46:47], v[50:51]
	v_add_f64 v[2:3], v[4:5], -v[8:9]
	v_add_f64 v[6:7], v[12:13], -v[0:1]
	;; [unrolled: 1-line block ×3, first 2 shown]
	v_add_f64 v[4:5], v[8:9], v[4:5]
	v_add_f64 v[0:1], v[12:13], v[0:1]
	;; [unrolled: 1-line block ×3, first 2 shown]
	v_add_f64 v[12:13], v[30:31], -v[34:35]
	v_add_f64 v[16:17], v[38:39], -v[42:43]
	;; [unrolled: 1-line block ×3, first 2 shown]
	v_add_f64 v[36:37], v[18:19], v[26:27]
	v_add_f64 v[24:25], v[46:47], -v[50:51]
	v_add_f64 v[28:29], v[2:3], v[6:7]
	v_add_f64 v[30:31], v[2:3], -v[6:7]
	v_add_f64 v[32:33], v[10:11], -v[2:3]
	;; [unrolled: 1-line block ×4, first 2 shown]
	v_add_f64 v[42:43], v[0:1], v[8:9]
	v_add_f64 v[44:45], v[12:13], v[16:17]
	v_add_f64 v[48:49], v[6:7], -v[10:11]
	v_add_f64 v[18:19], v[18:19], -v[26:27]
	;; [unrolled: 1-line block ×3, first 2 shown]
	v_mul_f64 v[6:7], v[34:35], s[6:7]
	v_add_f64 v[8:9], v[14:15], v[36:37]
	v_add_f64 v[38:39], v[4:5], -v[0:1]
	v_mul_f64 v[30:31], v[30:31], s[12:13]
	v_mul_f64 v[50:51], v[2:3], s[8:9]
	v_add_f64 v[4:5], v[4:5], v[42:43]
	v_add_f64 v[36:37], v[44:45], v[24:25]
	v_mul_f64 v[14:15], v[48:49], s[2:3]
	v_fma_f64 v[44:45], s[8:9], v[2:3], v[6:7]
	v_add_f64 v[2:3], v[22:23], v[8:9]
	v_add_f64 v[46:47], v[12:13], -v[16:17]
	v_fma_f64 v[42:43], s[22:23], v[32:33], v[30:31]
	v_add_f64 v[0:1], v[20:21], v[4:5]
	v_fma_f64 v[20:21], v[32:33], s[20:21], -v[14:15]
	v_mov_b64_e32 v[32:33], v[2:3]
	v_add_f64 v[16:17], v[16:17], -v[24:25]
	v_add_f64 v[12:13], v[24:25], -v[12:13]
	v_add_f64 v[28:29], v[28:29], v[10:11]
	v_mul_f64 v[10:11], v[40:41], s[6:7]
	v_mul_f64 v[40:41], v[46:47], s[12:13]
	v_fmac_f64_e32 v[32:33], s[10:11], v[8:9]
	v_mul_f64 v[8:9], v[16:17], s[2:3]
	v_mul_f64 v[34:35], v[38:39], s[8:9]
	v_fma_f64 v[22:23], s[8:9], v[38:39], v[10:11]
	v_fma_f64 v[38:39], s[22:23], v[12:13], v[40:41]
	v_mov_b64_e32 v[46:47], v[0:1]
	v_fma_f64 v[24:25], v[12:13], s[20:21], -v[8:9]
	v_fma_f64 v[12:13], v[18:19], s[14:15], -v[50:51]
	;; [unrolled: 1-line block ×4, first 2 shown]
	v_fmac_f64_e32 v[46:47], s[10:11], v[4:5]
	v_add_f64 v[18:19], v[12:13], v[32:33]
	v_fma_f64 v[30:31], v[48:49], s[2:3], -v[30:31]
	v_fma_f64 v[16:17], v[16:17], s[2:3], -v[40:41]
	;; [unrolled: 1-line block ×3, first 2 shown]
	v_fmac_f64_e32 v[42:43], s[16:17], v[28:29]
	v_fmac_f64_e32 v[38:39], s[16:17], v[36:37]
	;; [unrolled: 1-line block ×3, first 2 shown]
	v_add_f64 v[44:45], v[44:45], v[32:33]
	v_add_f64 v[52:53], v[22:23], v[46:47]
	;; [unrolled: 1-line block ×4, first 2 shown]
	v_fmac_f64_e32 v[24:25], s[16:17], v[36:37]
	v_fmac_f64_e32 v[30:31], s[16:17], v[28:29]
	;; [unrolled: 1-line block ×3, first 2 shown]
	v_add_f64 v[26:27], v[12:13], v[46:47]
	v_lshl_add_u32 v28, v57, 4, 0
	v_add_f64 v[6:7], v[42:43], v[44:45]
	v_add_f64 v[4:5], v[52:53], -v[38:39]
	v_add_f64 v[10:11], v[20:21], v[22:23]
	v_add_f64 v[8:9], v[54:55], -v[24:25]
	v_add_f64 v[14:15], v[18:19], -v[30:31]
	v_add_f64 v[12:13], v[16:17], v[26:27]
	v_add_f64 v[18:19], v[30:31], v[18:19]
	v_add_f64 v[16:17], v[26:27], -v[16:17]
	v_add_f64 v[22:23], v[22:23], -v[20:21]
	v_add_f64 v[20:21], v[24:25], v[54:55]
	v_add_f64 v[26:27], v[44:45], -v[42:43]
	v_add_f64 v[24:25], v[38:39], v[52:53]
	ds_write_b128 v28, v[0:3] offset:17472
	ds_write_b128 v28, v[24:27] offset:18720
	;; [unrolled: 1-line block ×7, first 2 shown]
.LBB0_29:
	s_or_b64 exec, exec, s[24:25]
	v_lshlrev_b32_e32 v0, 1, v82
	v_mov_b32_e32 v1, 0
	v_lshl_add_u64 v[2:3], v[0:1], 4, s[4:5]
	s_movk_i32 s6, 0x2000
	s_mov_b64 s[2:3], 0x2150
	v_add_co_u32_e32 v12, vcc, s6, v2
	v_lshl_add_u64 v[10:11], v[2:3], 0, s[2:3]
	s_nop 0
	v_addc_co_u32_e32 v13, vcc, 0, v3, vcc
	v_lshlrev_b32_e32 v0, 1, v56
	s_waitcnt lgkmcnt(0)
	s_barrier
	global_load_dwordx4 v[2:5], v[12:13], off offset:336
	global_load_dwordx4 v[6:9], v[10:11], off offset:16
	v_lshl_add_u64 v[10:11], v[0:1], 4, s[4:5]
	v_add_co_u32_e32 v20, vcc, s6, v10
	v_lshlrev_b32_e32 v0, 1, v252
	v_lshl_add_u64 v[18:19], v[10:11], 0, s[2:3]
	v_addc_co_u32_e32 v21, vcc, 0, v11, vcc
	v_lshl_add_u64 v[22:23], v[0:1], 4, s[4:5]
	global_load_dwordx4 v[10:13], v[20:21], off offset:336
	global_load_dwordx4 v[14:17], v[18:19], off offset:16
	v_add_co_u32_e32 v18, vcc, s6, v22
	s_mov_b32 s5, 0xbfebb67a
	s_nop 0
	v_addc_co_u32_e32 v19, vcc, 0, v23, vcc
	v_lshl_add_u64 v[22:23], v[22:23], 0, s[2:3]
	global_load_dwordx4 v[18:21], v[18:19], off offset:336
	s_mov_b32 s2, 0xe8584caa
	global_load_dwordx4 v[22:25], v[22:23], off offset:16
	ds_read_b128 v[26:29], v249
	ds_read_b128 v[30:33], v248
	ds_read_b128 v[34:37], v248 offset:2912
	ds_read_b128 v[38:41], v248 offset:17472
	;; [unrolled: 1-line block ×5, first 2 shown]
	ds_read_b128 v[54:57], v83
	ds_read_b128 v[58:61], v248 offset:23296
	s_mov_b32 s3, 0x3febb67a
	s_mov_b32 s4, s2
	s_waitcnt lgkmcnt(0)
	s_barrier
	s_waitcnt vmcnt(5)
	v_mul_f64 v[62:63], v[28:29], v[4:5]
	v_mul_f64 v[4:5], v[26:27], v[4:5]
	s_waitcnt vmcnt(4)
	v_mul_f64 v[64:65], v[40:41], v[8:9]
	v_mul_f64 v[8:9], v[38:39], v[8:9]
	v_fma_f64 v[26:27], v[26:27], v[2:3], -v[62:63]
	v_fmac_f64_e32 v[4:5], v[28:29], v[2:3]
	v_fma_f64 v[2:3], v[38:39], v[6:7], -v[64:65]
	v_fmac_f64_e32 v[8:9], v[40:41], v[6:7]
	s_waitcnt vmcnt(3)
	v_mul_f64 v[6:7], v[48:49], v[12:13]
	v_mul_f64 v[28:29], v[46:47], v[12:13]
	s_waitcnt vmcnt(2)
	v_mul_f64 v[12:13], v[44:45], v[16:17]
	v_mul_f64 v[16:17], v[42:43], v[16:17]
	v_fma_f64 v[38:39], v[46:47], v[10:11], -v[6:7]
	v_fma_f64 v[40:41], v[42:43], v[14:15], -v[12:13]
	v_add_f64 v[12:13], v[30:31], v[26:27]
	v_fmac_f64_e32 v[28:29], v[48:49], v[10:11]
	v_fmac_f64_e32 v[16:17], v[44:45], v[14:15]
	s_waitcnt vmcnt(1)
	v_mul_f64 v[6:7], v[52:53], v[20:21]
	s_waitcnt vmcnt(0)
	v_mul_f64 v[10:11], v[60:61], v[24:25]
	v_add_f64 v[14:15], v[26:27], v[2:3]
	v_add_f64 v[26:27], v[26:27], -v[2:3]
	v_add_f64 v[2:3], v[12:13], v[2:3]
	v_add_f64 v[12:13], v[38:39], v[40:41]
	v_mul_f64 v[42:43], v[50:51], v[20:21]
	v_fma_f64 v[48:49], v[50:51], v[18:19], -v[6:7]
	v_fma_f64 v[50:51], v[58:59], v[22:23], -v[10:11]
	v_add_f64 v[10:11], v[34:35], v[38:39]
	v_fmac_f64_e32 v[34:35], -0.5, v[12:13]
	v_add_f64 v[12:13], v[28:29], -v[16:17]
	v_fmac_f64_e32 v[30:31], -0.5, v[14:15]
	v_fma_f64 v[14:15], s[2:3], v[12:13], v[34:35]
	v_fmac_f64_e32 v[34:35], s[4:5], v[12:13]
	v_add_f64 v[12:13], v[36:37], v[28:29]
	v_mul_f64 v[24:25], v[58:59], v[24:25]
	v_add_f64 v[20:21], v[4:5], -v[8:9]
	v_add_f64 v[12:13], v[12:13], v[16:17]
	v_add_f64 v[16:17], v[28:29], v[16:17]
	v_fmac_f64_e32 v[42:43], v[52:53], v[18:19]
	v_fmac_f64_e32 v[24:25], v[60:61], v[22:23]
	v_fma_f64 v[6:7], s[2:3], v[20:21], v[30:31]
	v_fmac_f64_e32 v[30:31], s[4:5], v[20:21]
	v_fmac_f64_e32 v[36:37], -0.5, v[16:17]
	v_add_f64 v[18:19], v[38:39], -v[40:41]
	v_add_f64 v[20:21], v[48:49], v[50:51]
	v_fma_f64 v[16:17], s[4:5], v[18:19], v[36:37]
	v_fmac_f64_e32 v[36:37], s[2:3], v[18:19]
	v_add_f64 v[18:19], v[54:55], v[48:49]
	v_fmac_f64_e32 v[54:55], -0.5, v[20:21]
	v_add_f64 v[20:21], v[42:43], -v[24:25]
	v_add_f64 v[46:47], v[4:5], v[8:9]
	v_fma_f64 v[22:23], s[2:3], v[20:21], v[54:55]
	v_fmac_f64_e32 v[54:55], s[4:5], v[20:21]
	v_add_f64 v[20:21], v[56:57], v[42:43]
	v_add_f64 v[44:45], v[32:33], v[4:5]
	v_fmac_f64_e32 v[32:33], -0.5, v[46:47]
	v_add_f64 v[20:21], v[20:21], v[24:25]
	v_add_f64 v[24:25], v[42:43], v[24:25]
	;; [unrolled: 1-line block ×3, first 2 shown]
	v_fma_f64 v[8:9], s[4:5], v[26:27], v[32:33]
	v_fmac_f64_e32 v[32:33], s[2:3], v[26:27]
	v_fmac_f64_e32 v[56:57], -0.5, v[24:25]
	v_add_f64 v[26:27], v[48:49], -v[50:51]
	v_add_f64 v[10:11], v[10:11], v[40:41]
	v_add_f64 v[18:19], v[18:19], v[50:51]
	v_fma_f64 v[24:25], s[4:5], v[26:27], v[56:57]
	v_fmac_f64_e32 v[56:57], s[2:3], v[26:27]
	ds_write_b128 v248, v[2:5]
	ds_write_b128 v248, v[6:9] offset:8736
	ds_write_b128 v248, v[30:33] offset:17472
	;; [unrolled: 1-line block ×5, first 2 shown]
	ds_write_b128 v83, v[18:21]
	ds_write_b128 v83, v[22:25] offset:8736
	ds_write_b128 v83, v[54:57] offset:17472
	s_waitcnt lgkmcnt(0)
	s_barrier
	s_and_saveexec_b64 s[2:3], s[0:1]
	s_cbranch_execz .LBB0_31
; %bb.30:
	v_lshl_add_u32 v12, v82, 4, 0
	ds_read_b128 v[2:5], v12
	ds_read_b128 v[6:9], v12 offset:2912
	v_mov_b32_e32 v83, v1
	v_lshl_add_u64 v[10:11], v[82:83], 4, v[80:81]
	v_add_u32_e32 v0, 0xb6, v82
	s_waitcnt lgkmcnt(1)
	global_store_dwordx4 v[10:11], v[2:5], off
	ds_read_b128 v[2:5], v12 offset:5824
	v_lshl_add_u64 v[10:11], v[0:1], 4, v[80:81]
	v_add_u32_e32 v0, 0x16c, v82
	s_waitcnt lgkmcnt(1)
	global_store_dwordx4 v[10:11], v[6:9], off
	ds_read_b128 v[6:9], v12 offset:8736
	v_lshl_add_u64 v[10:11], v[0:1], 4, v[80:81]
	s_waitcnt lgkmcnt(1)
	global_store_dwordx4 v[10:11], v[2:5], off
	ds_read_b128 v[2:5], v12 offset:11648
	v_add_u32_e32 v0, 0x222, v82
	v_lshl_add_u64 v[10:11], v[0:1], 4, v[80:81]
	v_add_u32_e32 v0, 0x2d8, v82
	s_waitcnt lgkmcnt(1)
	global_store_dwordx4 v[10:11], v[6:9], off
	ds_read_b128 v[6:9], v12 offset:14560
	v_lshl_add_u64 v[10:11], v[0:1], 4, v[80:81]
	s_waitcnt lgkmcnt(1)
	global_store_dwordx4 v[10:11], v[2:5], off
	ds_read_b128 v[2:5], v12 offset:17472
	v_add_u32_e32 v0, 0x38e, v82
	v_lshl_add_u64 v[10:11], v[0:1], 4, v[80:81]
	v_add_u32_e32 v0, 0x444, v82
	s_waitcnt lgkmcnt(1)
	global_store_dwordx4 v[10:11], v[6:9], off
	ds_read_b128 v[6:9], v12 offset:20384
	v_lshl_add_u64 v[10:11], v[0:1], 4, v[80:81]
	s_waitcnt lgkmcnt(1)
	global_store_dwordx4 v[10:11], v[2:5], off
	ds_read_b128 v[2:5], v12 offset:23296
	v_add_u32_e32 v0, 0x4fa, v82
	v_lshl_add_u64 v[10:11], v[0:1], 4, v[80:81]
	v_add_u32_e32 v0, 0x5b0, v82
	v_lshl_add_u64 v[0:1], v[0:1], 4, v[80:81]
	s_waitcnt lgkmcnt(1)
	global_store_dwordx4 v[10:11], v[6:9], off
	s_waitcnt lgkmcnt(0)
	global_store_dwordx4 v[0:1], v[2:5], off
.LBB0_31:
	s_endpgm
	.section	.rodata,"a",@progbits
	.p2align	6, 0x0
	.amdhsa_kernel fft_rtc_fwd_len1638_factors_13_2_3_7_3_wgs_182_tpt_182_halfLds_dp_ip_CI_unitstride_sbrr_C2R_dirReg
		.amdhsa_group_segment_fixed_size 0
		.amdhsa_private_segment_fixed_size 0
		.amdhsa_kernarg_size 88
		.amdhsa_user_sgpr_count 2
		.amdhsa_user_sgpr_dispatch_ptr 0
		.amdhsa_user_sgpr_queue_ptr 0
		.amdhsa_user_sgpr_kernarg_segment_ptr 1
		.amdhsa_user_sgpr_dispatch_id 0
		.amdhsa_user_sgpr_kernarg_preload_length 0
		.amdhsa_user_sgpr_kernarg_preload_offset 0
		.amdhsa_user_sgpr_private_segment_size 0
		.amdhsa_uses_dynamic_stack 0
		.amdhsa_enable_private_segment 0
		.amdhsa_system_sgpr_workgroup_id_x 1
		.amdhsa_system_sgpr_workgroup_id_y 0
		.amdhsa_system_sgpr_workgroup_id_z 0
		.amdhsa_system_sgpr_workgroup_info 0
		.amdhsa_system_vgpr_workitem_id 0
		.amdhsa_next_free_vgpr 268
		.amdhsa_next_free_sgpr 46
		.amdhsa_accum_offset 256
		.amdhsa_reserve_vcc 1
		.amdhsa_float_round_mode_32 0
		.amdhsa_float_round_mode_16_64 0
		.amdhsa_float_denorm_mode_32 3
		.amdhsa_float_denorm_mode_16_64 3
		.amdhsa_dx10_clamp 1
		.amdhsa_ieee_mode 1
		.amdhsa_fp16_overflow 0
		.amdhsa_tg_split 0
		.amdhsa_exception_fp_ieee_invalid_op 0
		.amdhsa_exception_fp_denorm_src 0
		.amdhsa_exception_fp_ieee_div_zero 0
		.amdhsa_exception_fp_ieee_overflow 0
		.amdhsa_exception_fp_ieee_underflow 0
		.amdhsa_exception_fp_ieee_inexact 0
		.amdhsa_exception_int_div_zero 0
	.end_amdhsa_kernel
	.text
.Lfunc_end0:
	.size	fft_rtc_fwd_len1638_factors_13_2_3_7_3_wgs_182_tpt_182_halfLds_dp_ip_CI_unitstride_sbrr_C2R_dirReg, .Lfunc_end0-fft_rtc_fwd_len1638_factors_13_2_3_7_3_wgs_182_tpt_182_halfLds_dp_ip_CI_unitstride_sbrr_C2R_dirReg
                                        ; -- End function
	.section	.AMDGPU.csdata,"",@progbits
; Kernel info:
; codeLenInByte = 11960
; NumSgprs: 52
; NumVgprs: 256
; NumAgprs: 12
; TotalNumVgprs: 268
; ScratchSize: 0
; MemoryBound: 0
; FloatMode: 240
; IeeeMode: 1
; LDSByteSize: 0 bytes/workgroup (compile time only)
; SGPRBlocks: 6
; VGPRBlocks: 33
; NumSGPRsForWavesPerEU: 52
; NumVGPRsForWavesPerEU: 268
; AccumOffset: 256
; Occupancy: 1
; WaveLimiterHint : 1
; COMPUTE_PGM_RSRC2:SCRATCH_EN: 0
; COMPUTE_PGM_RSRC2:USER_SGPR: 2
; COMPUTE_PGM_RSRC2:TRAP_HANDLER: 0
; COMPUTE_PGM_RSRC2:TGID_X_EN: 1
; COMPUTE_PGM_RSRC2:TGID_Y_EN: 0
; COMPUTE_PGM_RSRC2:TGID_Z_EN: 0
; COMPUTE_PGM_RSRC2:TIDIG_COMP_CNT: 0
; COMPUTE_PGM_RSRC3_GFX90A:ACCUM_OFFSET: 63
; COMPUTE_PGM_RSRC3_GFX90A:TG_SPLIT: 0
	.text
	.p2alignl 6, 3212836864
	.fill 256, 4, 3212836864
	.type	__hip_cuid_f2fb6aaf9a8abb5b,@object ; @__hip_cuid_f2fb6aaf9a8abb5b
	.section	.bss,"aw",@nobits
	.globl	__hip_cuid_f2fb6aaf9a8abb5b
__hip_cuid_f2fb6aaf9a8abb5b:
	.byte	0                               ; 0x0
	.size	__hip_cuid_f2fb6aaf9a8abb5b, 1

	.ident	"AMD clang version 19.0.0git (https://github.com/RadeonOpenCompute/llvm-project roc-6.4.0 25133 c7fe45cf4b819c5991fe208aaa96edf142730f1d)"
	.section	".note.GNU-stack","",@progbits
	.addrsig
	.addrsig_sym __hip_cuid_f2fb6aaf9a8abb5b
	.amdgpu_metadata
---
amdhsa.kernels:
  - .agpr_count:     12
    .args:
      - .actual_access:  read_only
        .address_space:  global
        .offset:         0
        .size:           8
        .value_kind:     global_buffer
      - .offset:         8
        .size:           8
        .value_kind:     by_value
      - .actual_access:  read_only
        .address_space:  global
        .offset:         16
        .size:           8
        .value_kind:     global_buffer
      - .actual_access:  read_only
        .address_space:  global
        .offset:         24
        .size:           8
        .value_kind:     global_buffer
      - .offset:         32
        .size:           8
        .value_kind:     by_value
      - .actual_access:  read_only
        .address_space:  global
        .offset:         40
        .size:           8
        .value_kind:     global_buffer
      - .actual_access:  read_only
        .address_space:  global
        .offset:         48
        .size:           8
        .value_kind:     global_buffer
      - .offset:         56
        .size:           4
        .value_kind:     by_value
      - .actual_access:  read_only
        .address_space:  global
        .offset:         64
        .size:           8
        .value_kind:     global_buffer
      - .actual_access:  read_only
        .address_space:  global
        .offset:         72
        .size:           8
        .value_kind:     global_buffer
      - .address_space:  global
        .offset:         80
        .size:           8
        .value_kind:     global_buffer
    .group_segment_fixed_size: 0
    .kernarg_segment_align: 8
    .kernarg_segment_size: 88
    .language:       OpenCL C
    .language_version:
      - 2
      - 0
    .max_flat_workgroup_size: 182
    .name:           fft_rtc_fwd_len1638_factors_13_2_3_7_3_wgs_182_tpt_182_halfLds_dp_ip_CI_unitstride_sbrr_C2R_dirReg
    .private_segment_fixed_size: 0
    .sgpr_count:     52
    .sgpr_spill_count: 0
    .symbol:         fft_rtc_fwd_len1638_factors_13_2_3_7_3_wgs_182_tpt_182_halfLds_dp_ip_CI_unitstride_sbrr_C2R_dirReg.kd
    .uniform_work_group_size: 1
    .uses_dynamic_stack: false
    .vgpr_count:     268
    .vgpr_spill_count: 0
    .wavefront_size: 64
amdhsa.target:   amdgcn-amd-amdhsa--gfx950
amdhsa.version:
  - 1
  - 2
...

	.end_amdgpu_metadata
